;; amdgpu-corpus repo=ROCm/rocFFT kind=compiled arch=gfx950 opt=O3
	.text
	.amdgcn_target "amdgcn-amd-amdhsa--gfx950"
	.amdhsa_code_object_version 6
	.protected	bluestein_single_fwd_len1815_dim1_dp_op_CI_CI ; -- Begin function bluestein_single_fwd_len1815_dim1_dp_op_CI_CI
	.globl	bluestein_single_fwd_len1815_dim1_dp_op_CI_CI
	.p2align	8
	.type	bluestein_single_fwd_len1815_dim1_dp_op_CI_CI,@function
bluestein_single_fwd_len1815_dim1_dp_op_CI_CI: ; @bluestein_single_fwd_len1815_dim1_dp_op_CI_CI
; %bb.0:
	s_load_dwordx4 s[12:15], s[0:1], 0x28
	v_mul_u32_u24_e32 v1, 0x18e, v0
	v_mov_b32_e32 v227, 0
	v_add_u32_sdwa v228, s2, v1 dst_sel:DWORD dst_unused:UNUSED_PAD src0_sel:DWORD src1_sel:WORD_1
	v_mov_b32_e32 v229, v227
	s_waitcnt lgkmcnt(0)
	v_cmp_gt_u64_e32 vcc, s[12:13], v[228:229]
	s_and_saveexec_b64 s[2:3], vcc
	s_cbranch_execz .LBB0_18
; %bb.1:
	s_load_dwordx4 s[4:7], s[0:1], 0x18
	s_load_dwordx4 s[8:11], s[0:1], 0x0
	v_mov_b32_e32 v2, s14
	v_mov_b32_e32 v3, s15
	s_movk_i32 s2, 0xa5
	s_waitcnt lgkmcnt(0)
	s_load_dwordx4 s[12:15], s[4:5], 0x0
	v_mul_lo_u16_sdwa v1, v1, s2 dst_sel:DWORD dst_unused:UNUSED_PAD src0_sel:WORD_1 src1_sel:DWORD
	v_sub_u16_e32 v226, v0, v1
	v_lshlrev_b32_e32 v224, 4, v226
	v_mov_b32_e32 v225, v227
	s_waitcnt lgkmcnt(0)
	v_mad_u64_u32 v[0:1], s[2:3], s14, v228, 0
	v_mov_b32_e32 v4, v1
	v_mad_u64_u32 v[4:5], s[2:3], s15, v228, v[4:5]
	v_mov_b32_e32 v1, v4
	v_mad_u64_u32 v[4:5], s[2:3], s12, v226, 0
	v_mov_b32_e32 v6, v5
	v_mad_u64_u32 v[6:7], s[2:3], s13, v226, v[6:7]
	v_mov_b32_e32 v5, v6
	v_lshl_add_u64 v[0:1], v[0:1], 4, v[2:3]
	v_lshl_add_u64 v[0:1], v[4:5], 4, v[0:1]
	v_mov_b32_e32 v2, 0xa50
	v_mad_u64_u32 v[4:5], s[2:3], s12, v2, v[0:1]
	s_mul_i32 s2, s13, 0xa50
	s_nop 0
	v_add_u32_e32 v5, s2, v5
	global_load_dwordx4 v[44:47], v[0:1], off
	v_mad_u64_u32 v[6:7], s[4:5], s12, v2, v[4:5]
	v_lshl_add_u64 v[32:33], s[8:9], 0, v[224:225]
	global_load_dwordx4 v[12:15], v224, s[8:9]
	global_load_dwordx4 v[8:11], v224, s[8:9] offset:2640
	v_add_u32_e32 v7, s2, v7
	s_movk_i32 s3, 0x1000
	v_add_co_u32_e32 v16, vcc, s3, v32
	v_mad_u64_u32 v[18:19], s[4:5], s12, v2, v[6:7]
	global_load_dwordx4 v[52:55], v[4:5], off
	global_load_dwordx4 v[48:51], v[6:7], off
	v_addc_co_u32_e32 v17, vcc, 0, v33, vcc
	v_add_u32_e32 v19, s2, v19
	global_load_dwordx4 v[92:95], v[16:17], off offset:1184
	global_load_dwordx4 v[4:7], v[16:17], off offset:3824
	v_mad_u64_u32 v[16:17], s[4:5], s12, v2, v[18:19]
	s_movk_i32 s3, 0x2000
	v_add_u32_e32 v17, s2, v17
	v_add_co_u32_e32 v20, vcc, s3, v32
	v_mad_u64_u32 v[22:23], s[4:5], s12, v2, v[16:17]
	s_nop 0
	v_addc_co_u32_e32 v21, vcc, 0, v33, vcc
	s_movk_i32 s3, 0x3000
	global_load_dwordx4 v[56:59], v[18:19], off
	global_load_dwordx4 v[60:63], v[16:17], off
	v_add_u32_e32 v23, s2, v23
	v_add_co_u32_e32 v24, vcc, s3, v32
	global_load_dwordx4 v[64:67], v[22:23], off
	s_nop 0
	v_addc_co_u32_e32 v25, vcc, 0, v33, vcc
	global_load_dwordx4 v[28:31], v[20:21], off offset:2368
	global_load_dwordx4 v[16:19], v[24:25], off offset:912
	v_mad_u64_u32 v[20:21], s[4:5], s12, v2, v[22:23]
	v_add_u32_e32 v21, s2, v21
	v_mad_u64_u32 v[26:27], s[4:5], s12, v2, v[20:21]
	s_movk_i32 s3, 0x4000
	v_add_u32_e32 v27, s2, v27
	v_add_co_u32_e32 v34, vcc, s3, v32
	global_load_dwordx4 v[68:71], v[20:21], off
	global_load_dwordx4 v[72:75], v[26:27], off
	v_addc_co_u32_e32 v35, vcc, 0, v33, vcc
	global_load_dwordx4 v[36:39], v[24:25], off offset:3552
	global_load_dwordx4 v[20:23], v[34:35], off offset:2096
	v_mad_u64_u32 v[24:25], s[4:5], s12, v2, v[26:27]
	v_add_u32_e32 v25, s2, v25
	s_movk_i32 s3, 0x5000
	v_add_co_u32_e32 v34, vcc, s3, v32
	v_mad_u64_u32 v[84:85], s[4:5], s12, v2, v[24:25]
	s_nop 0
	v_addc_co_u32_e32 v35, vcc, 0, v33, vcc
	v_add_u32_e32 v85, s2, v85
	global_load_dwordx4 v[76:79], v[24:25], off
	global_load_dwordx4 v[80:83], v[84:85], off
	global_load_dwordx4 v[40:43], v[34:35], off offset:640
	s_nop 0
	global_load_dwordx4 v[24:27], v[34:35], off offset:3280
	v_mad_u64_u32 v[34:35], s[4:5], s12, v2, v[84:85]
	v_add_u32_e32 v35, s2, v35
	s_movk_i32 s2, 0x6000
	v_add_co_u32_e32 v32, vcc, s2, v32
	global_load_dwordx4 v[84:87], v[34:35], off
	s_nop 0
	v_addc_co_u32_e32 v33, vcc, 0, v33, vcc
	global_load_dwordx4 v[32:35], v[32:33], off offset:1824
	s_load_dwordx4 s[4:7], s[6:7], 0x0
	s_mov_b32 s24, 0xf8bb580b
	s_mov_b32 s18, 0x43842ef
	;; [unrolled: 1-line block ×10, first 2 shown]
	s_waitcnt vmcnt(20)
	v_mul_f64 v[88:89], v[46:47], v[14:15]
	v_fmac_f64_e32 v[88:89], v[44:45], v[12:13]
	v_mul_f64 v[44:45], v[44:45], v[14:15]
	v_fma_f64 v[90:91], v[46:47], v[12:13], -v[44:45]
	ds_write_b128 v224, v[88:91]
	s_mov_b32 s14, 0x640f44db
	s_mov_b32 s23, 0xbfe82f19
	s_waitcnt vmcnt(18)
	v_mul_f64 v[44:45], v[54:55], v[10:11]
	v_mul_f64 v[46:47], v[52:53], v[10:11]
	v_fmac_f64_e32 v[44:45], v[52:53], v[8:9]
	v_fma_f64 v[46:47], v[54:55], v[8:9], -v[46:47]
	ds_write_b128 v224, v[44:47] offset:2640
	s_waitcnt vmcnt(16)
	v_mul_f64 v[44:45], v[50:51], v[94:95]
	v_mul_f64 v[46:47], v[48:49], v[94:95]
	v_fmac_f64_e32 v[44:45], v[48:49], v[92:93]
	v_fma_f64 v[46:47], v[50:51], v[92:93], -v[46:47]
	ds_write_b128 v224, v[44:47] offset:5280
	v_accvgpr_write_b32 a12, v92
	v_accvgpr_write_b32 a13, v93
	;; [unrolled: 1-line block ×4, first 2 shown]
	s_mov_b32 s26, 0x7f775887
	s_mov_b32 s31, 0xbfd207e7
	s_waitcnt vmcnt(14)
	v_mul_f64 v[44:45], v[58:59], v[6:7]
	v_mul_f64 v[46:47], v[56:57], v[6:7]
	v_fmac_f64_e32 v[44:45], v[56:57], v[4:5]
	v_fma_f64 v[46:47], v[58:59], v[4:5], -v[46:47]
	ds_write_b128 v224, v[44:47] offset:7920
	s_mov_b32 s28, 0x9bcd5057
	s_mov_b32 s21, 0x3feaeb8c
	s_waitcnt vmcnt(11)
	v_mul_f64 v[44:45], v[62:63], v[30:31]
	v_mul_f64 v[46:47], v[60:61], v[30:31]
	v_fmac_f64_e32 v[44:45], v[60:61], v[28:29]
	v_fma_f64 v[46:47], v[62:63], v[28:29], -v[46:47]
	ds_write_b128 v224, v[44:47] offset:10560
	s_waitcnt vmcnt(10)
	v_mul_f64 v[44:45], v[66:67], v[18:19]
	v_mul_f64 v[46:47], v[64:65], v[18:19]
	v_fmac_f64_e32 v[44:45], v[64:65], v[16:17]
	v_fma_f64 v[46:47], v[66:67], v[16:17], -v[46:47]
	ds_write_b128 v224, v[44:47] offset:13200
	s_mov_b32 s3, 0x3fda9628
	s_mov_b32 s15, 0xbfc2375f
	;; [unrolled: 1-line block ×4, first 2 shown]
	s_waitcnt vmcnt(7)
	v_mul_f64 v[44:45], v[70:71], v[38:39]
	v_mul_f64 v[46:47], v[68:69], v[38:39]
	v_fmac_f64_e32 v[44:45], v[68:69], v[36:37]
	v_fma_f64 v[46:47], v[70:71], v[36:37], -v[46:47]
	ds_write_b128 v224, v[44:47] offset:15840
	s_waitcnt vmcnt(6)
	v_mul_f64 v[44:45], v[74:75], v[22:23]
	v_mul_f64 v[46:47], v[72:73], v[22:23]
	v_fmac_f64_e32 v[44:45], v[72:73], v[20:21]
	v_fma_f64 v[46:47], v[74:75], v[20:21], -v[46:47]
	ds_write_b128 v224, v[44:47] offset:18480
	s_mov_b32 s39, 0x3fd207e7
	s_mov_b32 s38, s30
	;; [unrolled: 1-line block ×3, first 2 shown]
	s_waitcnt vmcnt(3)
	v_mul_f64 v[44:45], v[78:79], v[42:43]
	v_mul_f64 v[46:47], v[76:77], v[42:43]
	v_fmac_f64_e32 v[44:45], v[76:77], v[40:41]
	v_fma_f64 v[46:47], v[78:79], v[40:41], -v[46:47]
	ds_write_b128 v224, v[44:47] offset:21120
	s_waitcnt vmcnt(2)
	v_mul_f64 v[44:45], v[82:83], v[26:27]
	v_mul_f64 v[46:47], v[80:81], v[26:27]
	v_fmac_f64_e32 v[44:45], v[80:81], v[24:25]
	v_fma_f64 v[46:47], v[82:83], v[24:25], -v[46:47]
	ds_write_b128 v224, v[44:47] offset:23760
	s_mov_b32 s36, s18
	s_waitcnt vmcnt(0)
	v_mul_f64 v[44:45], v[86:87], v[34:35]
	v_mul_f64 v[46:47], v[84:85], v[34:35]
	v_fmac_f64_e32 v[44:45], v[84:85], v[32:33]
	v_fma_f64 v[46:47], v[86:87], v[32:33], -v[46:47]
	ds_write_b128 v224, v[44:47] offset:26400
	s_waitcnt lgkmcnt(0)
	s_barrier
	ds_read_b128 v[68:71], v224
	ds_read_b128 v[76:79], v224 offset:2640
	ds_read_b128 v[80:83], v224 offset:5280
	;; [unrolled: 1-line block ×10, first 2 shown]
	s_waitcnt lgkmcnt(9)
	v_add_f64 v[48:49], v[68:69], v[76:77]
	v_add_f64 v[50:51], v[70:71], v[78:79]
	s_waitcnt lgkmcnt(8)
	v_add_f64 v[48:49], v[48:49], v[80:81]
	v_add_f64 v[50:51], v[50:51], v[82:83]
	;; [unrolled: 3-line block ×8, first 2 shown]
	s_waitcnt lgkmcnt(1)
	v_add_f64 v[48:49], v[48:49], v[84:85]
	s_waitcnt lgkmcnt(0)
	v_add_f64 v[94:95], v[78:79], v[90:91]
	v_add_f64 v[78:79], v[78:79], -v[90:91]
	v_add_f64 v[50:51], v[50:51], v[86:87]
	v_add_f64 v[48:49], v[48:49], v[88:89]
	;; [unrolled: 1-line block ×3, first 2 shown]
	v_add_f64 v[76:77], v[76:77], -v[88:89]
	v_mul_f64 v[88:89], v[78:79], s[24:25]
	v_mul_f64 v[100:101], v[78:79], s[16:17]
	;; [unrolled: 1-line block ×3, first 2 shown]
	v_add_f64 v[112:113], v[80:81], v[84:85]
	v_add_f64 v[80:81], v[80:81], -v[84:85]
	v_mul_f64 v[84:85], v[78:79], s[22:23]
	v_mul_f64 v[78:79], v[78:79], s[30:31]
	v_add_f64 v[50:51], v[50:51], v[90:91]
	v_fma_f64 v[90:91], v[92:93], s[20:21], -v[88:89]
	v_mul_f64 v[96:97], v[76:77], s[24:25]
	v_fmac_f64_e32 v[88:89], s[20:21], v[92:93]
	v_fma_f64 v[102:103], v[92:93], s[2:3], -v[100:101]
	v_mul_f64 v[104:105], v[76:77], s[16:17]
	v_fmac_f64_e32 v[100:101], s[2:3], v[92:93]
	v_fma_f64 v[110:111], v[92:93], s[14:15], -v[108:109]
	v_fmac_f64_e32 v[108:109], s[14:15], v[92:93]
	v_add_f64 v[114:115], v[82:83], v[86:87]
	v_add_f64 v[82:83], v[82:83], -v[86:87]
	v_fma_f64 v[86:87], v[92:93], s[26:27], -v[84:85]
	v_fmac_f64_e32 v[84:85], s[26:27], v[92:93]
	v_fma_f64 v[116:117], v[92:93], s[28:29], -v[78:79]
	v_fmac_f64_e32 v[78:79], s[28:29], v[92:93]
	v_mul_f64 v[92:93], v[76:77], s[18:19]
	v_mul_f64 v[120:121], v[76:77], s[22:23]
	v_mul_f64 v[76:77], v[76:77], s[30:31]
	v_fma_f64 v[98:99], s[20:21], v[94:95], v[96:97]
	v_fma_f64 v[96:97], v[94:95], s[20:21], -v[96:97]
	v_fma_f64 v[106:107], s[2:3], v[94:95], v[104:105]
	v_fma_f64 v[104:105], v[94:95], s[2:3], -v[104:105]
	;; [unrolled: 2-line block ×5, first 2 shown]
	v_add_f64 v[94:95], v[70:71], v[98:99]
	v_add_f64 v[96:97], v[70:71], v[96:97]
	v_add_f64 v[98:99], v[68:69], v[102:103]
	v_add_f64 v[102:103], v[70:71], v[106:107]
	v_add_f64 v[104:105], v[70:71], v[104:105]
	v_add_f64 v[106:107], v[68:69], v[110:111]
	v_add_f64 v[110:111], v[70:71], v[118:119]
	v_add_f64 v[92:93], v[70:71], v[92:93]
	v_add_f64 v[118:119], v[70:71], v[122:123]
	v_add_f64 v[120:121], v[70:71], v[120:121]
	v_add_f64 v[122:123], v[70:71], v[124:125]
	v_add_f64 v[70:71], v[70:71], v[76:77]
	v_mul_f64 v[76:77], v[82:83], s[16:17]
	v_add_f64 v[90:91], v[68:69], v[90:91]
	v_add_f64 v[88:89], v[68:69], v[88:89]
	v_add_f64 v[100:101], v[68:69], v[100:101]
	v_add_f64 v[108:109], v[68:69], v[108:109]
	v_add_f64 v[86:87], v[68:69], v[86:87]
	v_add_f64 v[84:85], v[68:69], v[84:85]
	v_add_f64 v[116:117], v[68:69], v[116:117]
	v_add_f64 v[68:69], v[68:69], v[78:79]
	v_fma_f64 v[78:79], v[112:113], s[2:3], -v[76:77]
	v_add_f64 v[78:79], v[78:79], v[90:91]
	v_mul_f64 v[90:91], v[80:81], s[16:17]
	v_fmac_f64_e32 v[76:77], s[2:3], v[112:113]
	v_fma_f64 v[124:125], s[2:3], v[114:115], v[90:91]
	v_add_f64 v[76:77], v[76:77], v[88:89]
	v_fma_f64 v[88:89], v[114:115], s[2:3], -v[90:91]
	v_mul_f64 v[90:91], v[82:83], s[22:23]
	v_add_f64 v[88:89], v[88:89], v[96:97]
	v_fma_f64 v[96:97], v[112:113], s[26:27], -v[90:91]
	v_add_f64 v[96:97], v[96:97], v[98:99]
	v_mul_f64 v[98:99], v[80:81], s[22:23]
	v_fmac_f64_e32 v[90:91], s[26:27], v[112:113]
	v_add_f64 v[94:95], v[124:125], v[94:95]
	v_fma_f64 v[124:125], s[26:27], v[114:115], v[98:99]
	v_add_f64 v[90:91], v[90:91], v[100:101]
	v_fma_f64 v[98:99], v[114:115], s[26:27], -v[98:99]
	v_mul_f64 v[100:101], v[82:83], s[38:39]
	v_add_f64 v[98:99], v[98:99], v[104:105]
	v_fma_f64 v[104:105], v[112:113], s[28:29], -v[100:101]
	v_add_f64 v[104:105], v[104:105], v[106:107]
	v_mul_f64 v[106:107], v[80:81], s[38:39]
	v_add_f64 v[102:103], v[124:125], v[102:103]
	v_fma_f64 v[124:125], s[28:29], v[114:115], v[106:107]
	v_fma_f64 v[106:107], v[114:115], s[28:29], -v[106:107]
	v_fmac_f64_e32 v[100:101], s[28:29], v[112:113]
	v_add_f64 v[92:93], v[106:107], v[92:93]
	v_mul_f64 v[106:107], v[82:83], s[36:37]
	v_add_f64 v[100:101], v[100:101], v[108:109]
	v_fma_f64 v[108:109], v[112:113], s[14:15], -v[106:107]
	s_mov_b32 s35, 0x3fe14ced
	s_mov_b32 s34, s24
	v_add_f64 v[86:87], v[108:109], v[86:87]
	v_mul_f64 v[108:109], v[80:81], s[36:37]
	v_fmac_f64_e32 v[106:107], s[14:15], v[112:113]
	v_mul_f64 v[82:83], v[82:83], s[34:35]
	v_add_f64 v[110:111], v[124:125], v[110:111]
	v_fma_f64 v[124:125], s[14:15], v[114:115], v[108:109]
	v_add_f64 v[84:85], v[106:107], v[84:85]
	v_fma_f64 v[106:107], v[114:115], s[14:15], -v[108:109]
	v_fma_f64 v[108:109], v[112:113], s[20:21], -v[82:83]
	v_mul_f64 v[80:81], v[80:81], s[34:35]
	v_fmac_f64_e32 v[82:83], s[20:21], v[112:113]
	v_add_f64 v[108:109], v[108:109], v[116:117]
	v_fma_f64 v[116:117], s[20:21], v[114:115], v[80:81]
	v_add_f64 v[68:69], v[82:83], v[68:69]
	v_fma_f64 v[80:81], v[114:115], s[20:21], -v[80:81]
	v_add_f64 v[82:83], v[66:67], v[74:75]
	v_add_f64 v[66:67], v[66:67], -v[74:75]
	v_add_f64 v[70:71], v[80:81], v[70:71]
	v_add_f64 v[80:81], v[64:65], v[72:73]
	v_add_f64 v[64:65], v[64:65], -v[72:73]
	v_mul_f64 v[72:73], v[66:67], s[18:19]
	v_fma_f64 v[74:75], v[80:81], s[14:15], -v[72:73]
	v_add_f64 v[74:75], v[74:75], v[78:79]
	v_mul_f64 v[78:79], v[64:65], s[18:19]
	v_fmac_f64_e32 v[72:73], s[14:15], v[80:81]
	v_fma_f64 v[112:113], s[14:15], v[82:83], v[78:79]
	v_add_f64 v[72:73], v[72:73], v[76:77]
	v_fma_f64 v[76:77], v[82:83], s[14:15], -v[78:79]
	v_mul_f64 v[78:79], v[66:67], s[38:39]
	v_add_f64 v[76:77], v[76:77], v[88:89]
	v_fma_f64 v[88:89], v[80:81], s[28:29], -v[78:79]
	v_add_f64 v[88:89], v[88:89], v[96:97]
	v_mul_f64 v[96:97], v[64:65], s[38:39]
	v_fmac_f64_e32 v[78:79], s[28:29], v[80:81]
	s_mov_b32 s17, 0x3fed1bb4
	v_add_f64 v[94:95], v[112:113], v[94:95]
	v_fma_f64 v[112:113], s[28:29], v[82:83], v[96:97]
	v_add_f64 v[78:79], v[78:79], v[90:91]
	v_fma_f64 v[90:91], v[82:83], s[28:29], -v[96:97]
	v_mul_f64 v[96:97], v[66:67], s[16:17]
	v_add_f64 v[90:91], v[90:91], v[98:99]
	v_fma_f64 v[98:99], v[80:81], s[2:3], -v[96:97]
	v_add_f64 v[98:99], v[98:99], v[104:105]
	v_mul_f64 v[104:105], v[64:65], s[16:17]
	v_fmac_f64_e32 v[96:97], s[2:3], v[80:81]
	v_add_f64 v[96:97], v[96:97], v[100:101]
	v_fma_f64 v[100:101], v[82:83], s[2:3], -v[104:105]
	v_add_f64 v[92:93], v[100:101], v[92:93]
	v_mul_f64 v[100:101], v[66:67], s[24:25]
	v_add_f64 v[102:103], v[112:113], v[102:103]
	v_fma_f64 v[112:113], s[2:3], v[82:83], v[104:105]
	v_fma_f64 v[104:105], v[80:81], s[20:21], -v[100:101]
	v_add_f64 v[86:87], v[104:105], v[86:87]
	v_mul_f64 v[104:105], v[64:65], s[24:25]
	v_fmac_f64_e32 v[100:101], s[20:21], v[80:81]
	v_add_f64 v[106:107], v[106:107], v[120:121]
	v_add_f64 v[84:85], v[100:101], v[84:85]
	v_fma_f64 v[100:101], v[82:83], s[20:21], -v[104:105]
	v_mul_f64 v[64:65], v[64:65], s[22:23]
	v_add_f64 v[100:101], v[100:101], v[106:107]
	v_mul_f64 v[66:67], v[66:67], s[22:23]
	v_fma_f64 v[106:107], s[26:27], v[82:83], v[64:65]
	v_fma_f64 v[64:65], v[82:83], s[26:27], -v[64:65]
	v_add_f64 v[110:111], v[112:113], v[110:111]
	v_fma_f64 v[112:113], s[20:21], v[82:83], v[104:105]
	v_fma_f64 v[104:105], v[80:81], s[26:27], -v[66:67]
	v_fmac_f64_e32 v[66:67], s[26:27], v[80:81]
	v_add_f64 v[64:65], v[64:65], v[70:71]
	v_add_f64 v[70:71], v[58:59], v[62:63]
	v_add_f64 v[58:59], v[58:59], -v[62:63]
	v_add_f64 v[66:67], v[66:67], v[68:69]
	v_add_f64 v[68:69], v[56:57], v[60:61]
	v_add_f64 v[56:57], v[56:57], -v[60:61]
	v_mul_f64 v[60:61], v[58:59], s[22:23]
	v_fma_f64 v[62:63], v[68:69], s[26:27], -v[60:61]
	v_add_f64 v[62:63], v[62:63], v[74:75]
	v_mul_f64 v[74:75], v[56:57], s[22:23]
	v_fmac_f64_e32 v[60:61], s[26:27], v[68:69]
	v_fma_f64 v[80:81], s[26:27], v[70:71], v[74:75]
	v_add_f64 v[60:61], v[60:61], v[72:73]
	v_fma_f64 v[72:73], v[70:71], s[26:27], -v[74:75]
	v_mul_f64 v[74:75], v[58:59], s[36:37]
	v_add_f64 v[72:73], v[72:73], v[76:77]
	v_fma_f64 v[76:77], v[68:69], s[14:15], -v[74:75]
	v_mul_f64 v[82:83], v[56:57], s[36:37]
	v_fmac_f64_e32 v[74:75], s[14:15], v[68:69]
	v_add_f64 v[76:77], v[76:77], v[88:89]
	v_fma_f64 v[88:89], s[14:15], v[70:71], v[82:83]
	v_add_f64 v[74:75], v[74:75], v[78:79]
	v_fma_f64 v[78:79], v[70:71], s[14:15], -v[82:83]
	v_mul_f64 v[82:83], v[58:59], s[24:25]
	v_add_f64 v[80:81], v[80:81], v[94:95]
	v_add_f64 v[78:79], v[78:79], v[90:91]
	v_fma_f64 v[90:91], v[68:69], s[20:21], -v[82:83]
	v_mul_f64 v[94:95], v[56:57], s[24:25]
	v_add_f64 v[90:91], v[90:91], v[98:99]
	v_fma_f64 v[98:99], s[20:21], v[70:71], v[94:95]
	v_fmac_f64_e32 v[82:83], s[20:21], v[68:69]
	v_fma_f64 v[94:95], v[70:71], s[20:21], -v[94:95]
	v_add_f64 v[82:83], v[82:83], v[96:97]
	v_add_f64 v[96:97], v[94:95], v[92:93]
	v_mul_f64 v[92:93], v[58:59], s[30:31]
	v_fma_f64 v[94:95], v[68:69], s[28:29], -v[92:93]
	v_add_f64 v[118:119], v[124:125], v[118:119]
	v_add_f64 v[86:87], v[94:95], v[86:87]
	v_mul_f64 v[94:95], v[56:57], s[30:31]
	v_add_f64 v[116:117], v[116:117], v[122:123]
	v_add_f64 v[112:113], v[112:113], v[118:119]
	;; [unrolled: 1-line block ×3, first 2 shown]
	v_fma_f64 v[102:103], s[28:29], v[70:71], v[94:95]
	v_fmac_f64_e32 v[92:93], s[28:29], v[68:69]
	v_add_f64 v[118:119], v[46:47], -v[54:55]
	v_add_f64 v[106:107], v[106:107], v[116:117]
	v_add_f64 v[102:103], v[102:103], v[112:113]
	;; [unrolled: 1-line block ×3, first 2 shown]
	v_fma_f64 v[92:93], v[70:71], s[28:29], -v[94:95]
	v_mul_f64 v[58:59], v[58:59], s[16:17]
	v_add_f64 v[112:113], v[44:45], v[52:53]
	v_add_f64 v[116:117], v[44:45], -v[52:53]
	v_mul_f64 v[44:45], v[118:119], s[30:31]
	v_add_f64 v[104:105], v[104:105], v[108:109]
	v_add_f64 v[100:101], v[92:93], v[100:101]
	v_fma_f64 v[92:93], v[68:69], s[2:3], -v[58:59]
	v_mul_f64 v[56:57], v[56:57], s[16:17]
	v_add_f64 v[114:115], v[46:47], v[54:55]
	v_fma_f64 v[46:47], v[112:113], s[28:29], -v[44:45]
	v_add_f64 v[104:105], v[92:93], v[104:105]
	v_fma_f64 v[92:93], s[2:3], v[70:71], v[56:57]
	v_add_f64 v[52:53], v[46:47], v[62:63]
	v_mul_f64 v[46:47], v[116:117], s[30:31]
	v_fmac_f64_e32 v[44:45], s[28:29], v[112:113]
	v_add_f64 v[106:107], v[92:93], v[106:107]
	v_add_f64 v[92:93], v[44:45], v[60:61]
	v_fma_f64 v[44:45], v[114:115], s[28:29], -v[46:47]
	v_fma_f64 v[56:57], v[70:71], s[2:3], -v[56:57]
	v_add_f64 v[94:95], v[44:45], v[72:73]
	v_mul_f64 v[44:45], v[118:119], s[34:35]
	v_add_f64 v[98:99], v[98:99], v[110:111]
	v_add_f64 v[110:111], v[56:57], v[64:65]
	v_fma_f64 v[54:55], s[28:29], v[114:115], v[46:47]
	v_fma_f64 v[46:47], v[112:113], s[20:21], -v[44:45]
	v_mul_f64 v[64:65], v[118:119], s[22:23]
	v_fmac_f64_e32 v[58:59], s[2:3], v[68:69]
	v_add_f64 v[56:57], v[46:47], v[76:77]
	v_mul_f64 v[46:47], v[116:117], s[34:35]
	v_fmac_f64_e32 v[44:45], s[20:21], v[112:113]
	v_fma_f64 v[60:61], v[112:113], s[26:27], -v[64:65]
	v_fmac_f64_e32 v[64:65], s[26:27], v[112:113]
	v_add_f64 v[108:109], v[58:59], v[66:67]
	v_add_f64 v[54:55], v[54:55], v[80:81]
	v_fma_f64 v[58:59], s[20:21], v[114:115], v[46:47]
	v_add_f64 v[44:45], v[44:45], v[74:75]
	v_fma_f64 v[46:47], v[114:115], s[20:21], -v[46:47]
	v_mul_f64 v[66:67], v[116:117], s[22:23]
	v_add_f64 v[64:65], v[64:65], v[82:83]
	v_mul_f64 v[72:73], v[118:119], s[16:17]
	v_mul_f64 v[74:75], v[116:117], s[16:17]
	;; [unrolled: 1-line block ×4, first 2 shown]
	v_mul_lo_u16_e32 v0, 11, v226
	v_add_f64 v[58:59], v[58:59], v[88:89]
	v_add_f64 v[46:47], v[46:47], v[78:79]
	v_fma_f64 v[62:63], s[26:27], v[114:115], v[66:67]
	v_fma_f64 v[66:67], v[114:115], s[26:27], -v[66:67]
	v_fma_f64 v[68:69], v[112:113], s[2:3], -v[72:73]
	v_fma_f64 v[70:71], s[2:3], v[114:115], v[74:75]
	v_fmac_f64_e32 v[72:73], s[2:3], v[112:113]
	v_fma_f64 v[74:75], v[114:115], s[2:3], -v[74:75]
	v_fma_f64 v[76:77], v[112:113], s[14:15], -v[80:81]
	v_fma_f64 v[78:79], s[14:15], v[114:115], v[82:83]
	v_fmac_f64_e32 v[80:81], s[14:15], v[112:113]
	v_fma_f64 v[82:83], v[114:115], s[14:15], -v[82:83]
	v_lshlrev_b32_e32 v206, 4, v0
	v_add_f64 v[60:61], v[60:61], v[90:91]
	v_add_f64 v[62:63], v[62:63], v[98:99]
	v_add_f64 v[66:67], v[66:67], v[96:97]
	v_add_f64 v[68:69], v[68:69], v[86:87]
	v_add_f64 v[70:71], v[70:71], v[102:103]
	v_add_f64 v[72:73], v[72:73], v[84:85]
	v_add_f64 v[74:75], v[74:75], v[100:101]
	v_add_f64 v[76:77], v[76:77], v[104:105]
	v_add_f64 v[78:79], v[78:79], v[106:107]
	v_add_f64 v[80:81], v[80:81], v[108:109]
	v_add_f64 v[82:83], v[82:83], v[110:111]
	s_barrier
	ds_write_b128 v206, v[48:51]
	ds_write_b128 v206, v[52:55] offset:16
	ds_write_b128 v206, v[56:59] offset:32
	;; [unrolled: 1-line block ×10, first 2 shown]
	s_waitcnt lgkmcnt(0)
	s_barrier
	ds_read_b128 v[56:59], v224
	ds_read_b128 v[52:55], v224 offset:2640
	ds_read_b128 v[96:99], v224 offset:19360
	;; [unrolled: 1-line block ×8, first 2 shown]
	s_load_dwordx2 s[12:13], s[0:1], 0x38
	v_accvgpr_write_b32 a8, v12
	v_accvgpr_write_b32 a0, v8
	;; [unrolled: 1-line block ×4, first 2 shown]
	s_movk_i32 s0, 0x6e
	v_accvgpr_write_b32 a9, v13
	v_accvgpr_write_b32 a10, v14
	;; [unrolled: 1-line block ×12, first 2 shown]
	v_cmp_gt_u16_e32 vcc, s0, v226
                                        ; implicit-def: $vgpr120_vgpr121
	s_and_saveexec_b64 s[0:1], vcc
	s_cbranch_execz .LBB0_3
; %bb.2:
	ds_read_b128 v[44:47], v224 offset:7920
	ds_read_b128 v[92:95], v224 offset:17600
	;; [unrolled: 1-line block ×3, first 2 shown]
.LBB0_3:
	s_or_b64 exec, exec, s[0:1]
	v_add_u16_e32 v186, 0x14a, v226
	v_mul_u32_u24_e32 v2, 0xba2f, v186
	v_lshrrev_b32_e32 v2, 19, v2
	v_mul_lo_u16_e32 v3, 11, v2
	v_sub_u16_e32 v3, v186, v3
	v_lshlrev_b16_e32 v4, 1, v3
	v_lshlrev_b32_e32 v4, 4, v4
	global_load_dwordx4 v[60:63], v4, s[10:11] offset:16
	global_load_dwordx4 v[64:67], v4, s[10:11]
	v_add_u16_e32 v4, 0x1ef, v226
	s_mov_b64 s[0:1], 0xa5
	v_mul_u32_u24_e32 v5, 0xba2f, v4
	v_lshl_add_u64 v[184:185], v[226:227], 0, s[0:1]
	s_mov_b32 s0, 0xba2f
	v_lshrrev_b32_e32 v5, 19, v5
	v_mul_u32_u24_sdwa v0, v184, s0 dst_sel:DWORD dst_unused:UNUSED_PAD src0_sel:WORD_0 src1_sel:DWORD
	v_accvgpr_write_b32 a20, v5
	v_mul_lo_u16_e32 v5, 11, v5
	v_lshrrev_b32_e32 v0, 19, v0
	v_sub_u16_e32 v4, v4, v5
	v_mul_lo_u16_e32 v1, 11, v0
	v_accvgpr_write_b32 a21, v4
	v_lshlrev_b16_e32 v4, 1, v4
	v_lshlrev_b32_e32 v4, 4, v4
	v_sub_u16_e32 v1, v184, v1
	global_load_dwordx4 v[68:71], v4, s[10:11] offset:16
	global_load_dwordx4 v[72:75], v4, s[10:11]
	v_lshlrev_b16_e32 v4, 1, v1
	v_lshlrev_b32_e32 v4, 4, v4
	s_movk_i32 s0, 0x75
	global_load_dwordx4 v[80:83], v4, s[10:11]
	global_load_dwordx4 v[76:79], v4, s[10:11] offset:16
	v_mul_lo_u16_sdwa v4, v226, s0 dst_sel:DWORD dst_unused:UNUSED_PAD src0_sel:BYTE_0 src1_sel:DWORD
	v_sub_u16_sdwa v5, v226, v4 dst_sel:DWORD dst_unused:UNUSED_PAD src0_sel:DWORD src1_sel:BYTE_1
	v_lshrrev_b16_e32 v5, 1, v5
	v_and_b32_e32 v5, 0x7f, v5
	v_add_u16_sdwa v4, v5, v4 dst_sel:DWORD dst_unused:UNUSED_PAD src0_sel:DWORD src1_sel:BYTE_1
	v_lshrrev_b16_e32 v4, 3, v4
	v_mul_lo_u16_e32 v5, 11, v4
	v_sub_u16_e32 v5, v226, v5
	v_and_b32_e32 v5, 0xff, v5
	v_lshlrev_b32_e32 v6, 5, v5
	global_load_dwordx4 v[88:91], v6, s[10:11]
	global_load_dwordx4 v[84:87], v6, s[10:11] offset:16
	s_mov_b32 s0, 0xe8584caa
	s_mov_b32 s1, 0x3febb67a
	;; [unrolled: 1-line block ×4, first 2 shown]
	v_mul_u32_u24_e32 v4, 33, v4
	v_mad_legacy_u16 v0, v0, 33, v1
	v_add_lshl_u32 v4, v4, v5, 4
	v_lshlrev_b32_e32 v229, 4, v0
	v_mad_legacy_u16 v0, v2, 33, v3
	v_accvgpr_write_b32 a22, v4
	v_lshlrev_b32_e32 v227, 4, v0
	s_waitcnt lgkmcnt(0)
	s_barrier
	s_waitcnt vmcnt(7)
	v_mul_f64 v[132:133], v[114:115], v[62:63]
	s_waitcnt vmcnt(6)
	v_mul_f64 v[124:125], v[118:119], v[66:67]
	v_mul_f64 v[126:127], v[116:117], v[66:67]
	;; [unrolled: 1-line block ×3, first 2 shown]
	v_fma_f64 v[124:125], v[116:117], v[64:65], -v[124:125]
	v_fmac_f64_e32 v[126:127], v[118:119], v[64:65]
	v_fma_f64 v[118:119], v[112:113], v[60:61], -v[132:133]
	v_fmac_f64_e32 v[134:135], v[114:115], v[60:61]
	s_waitcnt vmcnt(5)
	v_mul_f64 v[138:139], v[122:123], v[70:71]
	s_waitcnt vmcnt(4)
	v_mul_f64 v[128:129], v[92:93], v[74:75]
	v_mul_f64 v[136:137], v[94:95], v[74:75]
	;; [unrolled: 1-line block ×3, first 2 shown]
	s_waitcnt vmcnt(3)
	v_mul_f64 v[140:141], v[110:111], v[82:83]
	v_mul_f64 v[142:143], v[108:109], v[82:83]
	s_waitcnt vmcnt(2)
	v_mul_f64 v[144:145], v[106:107], v[78:79]
	v_fmac_f64_e32 v[128:129], v[94:95], v[72:73]
	v_fma_f64 v[94:95], v[120:121], v[68:69], -v[138:139]
	v_fma_f64 v[112:113], v[108:109], v[80:81], -v[140:141]
	v_mul_f64 v[146:147], v[104:105], v[78:79]
	v_fmac_f64_e32 v[142:143], v[110:111], v[80:81]
	v_fma_f64 v[110:111], v[104:105], v[76:77], -v[144:145]
	v_fmac_f64_e32 v[146:147], v[106:107], v[76:77]
	v_add_f64 v[106:107], v[112:113], v[110:111]
	s_waitcnt vmcnt(1)
	v_mul_f64 v[108:109], v[102:103], v[90:91]
	v_mul_f64 v[114:115], v[100:101], v[90:91]
	s_waitcnt vmcnt(0)
	v_mul_f64 v[116:117], v[98:99], v[86:87]
	v_mul_f64 v[120:121], v[96:97], v[86:87]
	v_fma_f64 v[100:101], v[100:101], v[88:89], -v[108:109]
	v_fmac_f64_e32 v[114:115], v[102:103], v[88:89]
	v_fma_f64 v[96:97], v[96:97], v[84:85], -v[116:117]
	v_fmac_f64_e32 v[120:121], v[98:99], v[84:85]
	v_add_f64 v[102:103], v[100:101], v[96:97]
	v_add_f64 v[108:109], v[114:115], -v[120:121]
	v_add_f64 v[116:117], v[58:59], v[114:115]
	v_add_f64 v[114:115], v[114:115], v[120:121]
	;; [unrolled: 1-line block ×4, first 2 shown]
	v_fmac_f64_e32 v[56:57], -0.5, v[102:103]
	v_fmac_f64_e32 v[58:59], -0.5, v[114:115]
	;; [unrolled: 1-line block ×3, first 2 shown]
	v_add_f64 v[106:107], v[142:143], -v[146:147]
	v_add_f64 v[114:115], v[142:143], v[146:147]
	v_fmac_f64_e32 v[130:131], v[122:123], v[68:69]
	v_add_f64 v[122:123], v[100:101], -v[96:97]
	v_fma_f64 v[100:101], s[0:1], v[108:109], v[56:57]
	v_fmac_f64_e32 v[56:57], s[2:3], v[108:109]
	v_fma_f64 v[108:109], s[0:1], v[106:107], v[52:53]
	v_fmac_f64_e32 v[52:53], s[2:3], v[106:107]
	v_add_f64 v[106:107], v[54:55], v[142:143]
	v_fmac_f64_e32 v[54:55], -0.5, v[114:115]
	v_add_f64 v[112:113], v[112:113], -v[110:111]
	v_add_f64 v[114:115], v[124:125], v[118:119]
	v_add_f64 v[104:105], v[104:105], v[110:111]
	;; [unrolled: 1-line block ×4, first 2 shown]
	v_fma_f64 v[110:111], s[2:3], v[112:113], v[54:55]
	v_fmac_f64_e32 v[54:55], s[0:1], v[112:113]
	v_add_f64 v[112:113], v[48:49], v[124:125]
	v_fmac_f64_e32 v[48:49], -0.5, v[114:115]
	v_add_f64 v[114:115], v[126:127], -v[134:135]
	v_add_f64 v[120:121], v[126:127], v[134:135]
	v_fma_f64 v[92:93], v[92:93], v[72:73], -v[136:137]
	v_fma_f64 v[116:117], s[0:1], v[114:115], v[48:49]
	v_fmac_f64_e32 v[48:49], s[2:3], v[114:115]
	v_add_f64 v[114:115], v[50:51], v[126:127]
	v_fmac_f64_e32 v[50:51], -0.5, v[120:121]
	v_add_f64 v[120:121], v[124:125], -v[118:119]
	v_add_f64 v[112:113], v[112:113], v[118:119]
	v_fma_f64 v[118:119], s[2:3], v[120:121], v[50:51]
	v_fmac_f64_e32 v[50:51], s[0:1], v[120:121]
	v_add_f64 v[120:121], v[92:93], v[94:95]
	v_fma_f64 v[124:125], -0.5, v[120:121], v[44:45]
	v_add_f64 v[120:121], v[128:129], -v[130:131]
	v_fma_f64 v[136:137], s[0:1], v[120:121], v[124:125]
	v_fmac_f64_e32 v[124:125], s[2:3], v[120:121]
	v_add_f64 v[120:121], v[128:129], v[130:131]
	v_fma_f64 v[126:127], -0.5, v[120:121], v[46:47]
	v_add_f64 v[120:121], v[92:93], -v[94:95]
	v_fma_f64 v[102:103], s[2:3], v[122:123], v[58:59]
	v_fmac_f64_e32 v[58:59], s[0:1], v[122:123]
	v_add_f64 v[106:107], v[106:107], v[146:147]
	v_add_f64 v[114:115], v[114:115], v[134:135]
	v_fma_f64 v[138:139], s[2:3], v[120:121], v[126:127]
	v_fmac_f64_e32 v[126:127], s[0:1], v[120:121]
	ds_write_b128 v4, v[96:99]
	ds_write_b128 v4, v[100:103] offset:176
	ds_write_b128 v4, v[56:59] offset:352
	ds_write_b128 v229, v[104:107]
	ds_write_b128 v229, v[108:111] offset:176
	ds_write_b128 v229, v[52:55] offset:352
	ds_write_b128 v227, v[112:115]
	ds_write_b128 v227, v[116:119] offset:176
	ds_write_b128 v227, v[48:51] offset:352
	s_and_saveexec_b64 s[0:1], vcc
	s_cbranch_execz .LBB0_5
; %bb.4:
	v_accvgpr_read_b32 v0, a20
	v_accvgpr_read_b32 v1, a21
	v_add_f64 v[46:47], v[46:47], v[128:129]
	v_add_f64 v[44:45], v[44:45], v[92:93]
	v_mad_legacy_u16 v0, v0, 33, v1
	v_add_f64 v[46:47], v[46:47], v[130:131]
	v_add_f64 v[44:45], v[44:45], v[94:95]
	v_lshlrev_b32_e32 v0, 4, v0
	ds_write_b128 v0, v[44:47]
	ds_write_b128 v0, v[136:139] offset:176
	ds_write_b128 v0, v[124:127] offset:352
.LBB0_5:
	s_or_b64 exec, exec, s[0:1]
	s_waitcnt lgkmcnt(0)
	s_barrier
	ds_read_b128 v[144:147], v224
	ds_read_b128 v[140:143], v224 offset:2640
	ds_read_b128 v[156:159], v224 offset:5808
	;; [unrolled: 1-line block ×9, first 2 shown]
	v_cmp_gt_u16_e64 s[0:1], 33, v226
                                        ; implicit-def: $vgpr172_vgpr173
                                        ; implicit-def: $vgpr176_vgpr177
                                        ; implicit-def: $vgpr180_vgpr181
	s_and_saveexec_b64 s[2:3], s[0:1]
	s_cbranch_execz .LBB0_7
; %bb.6:
	ds_read_b128 v[136:139], v224 offset:5280
	ds_read_b128 v[124:127], v224 offset:11088
	;; [unrolled: 1-line block ×5, first 2 shown]
.LBB0_7:
	s_or_b64 exec, exec, s[2:3]
	s_movk_i32 s2, 0xf9
	v_mul_lo_u16_sdwa v0, v226, s2 dst_sel:DWORD dst_unused:UNUSED_PAD src0_sel:BYTE_0 src1_sel:DWORD
	v_lshrrev_b16_e32 v188, 13, v0
	v_mul_lo_u16_e32 v0, 33, v188
	v_sub_u16_e32 v0, v226, v0
	v_and_b32_e32 v189, 0xff, v0
	v_lshlrev_b32_e32 v0, 6, v189
	s_mov_b32 s2, 0xf83f
	global_load_dwordx4 v[92:95], v0, s[10:11] offset:400
	global_load_dwordx4 v[96:99], v0, s[10:11] offset:384
	;; [unrolled: 1-line block ×4, first 2 shown]
	v_mul_u32_u24_sdwa v0, v184, s2 dst_sel:DWORD dst_unused:UNUSED_PAD src0_sel:WORD_0 src1_sel:DWORD
	v_lshrrev_b32_e32 v0, 21, v0
	v_mul_lo_u16_e32 v1, 33, v0
	v_sub_u16_e32 v1, v184, v1
	v_mul_u32_u24_e32 v2, 0xf83f, v186
	v_lshlrev_b16_e32 v184, 6, v1
	v_mov_b32_e32 v185, 0
	v_lshrrev_b32_e32 v2, 21, v2
	v_lshl_add_u64 v[44:45], s[10:11], 0, v[184:185]
	v_mul_lo_u16_e32 v2, 33, v2
	global_load_dwordx4 v[120:123], v[44:45], off offset:352
	global_load_dwordx4 v[116:119], v[44:45], off offset:368
	;; [unrolled: 1-line block ×4, first 2 shown]
	v_sub_u16_e32 v2, v186, v2
	v_lshlrev_b16_e32 v184, 6, v2
	v_lshl_add_u64 v[44:45], s[10:11], 0, v[184:185]
	global_load_dwordx4 v[48:51], v[44:45], off offset:352
	global_load_dwordx4 v[56:59], v[44:45], off offset:368
	;; [unrolled: 1-line block ×3, first 2 shown]
	s_nop 0
	global_load_dwordx4 v[44:47], v[44:45], off offset:400
	s_mov_b32 s2, 0x134454ff
	s_mov_b32 s3, 0x3fee6f0e
	;; [unrolled: 1-line block ×10, first 2 shown]
	v_mul_u32_u24_e32 v3, 0xa5, v188
	v_add_lshl_u32 v234, v3, v189, 4
	s_waitcnt lgkmcnt(0)
	s_barrier
	s_waitcnt vmcnt(11)
	v_mul_f64 v[202:203], v[168:169], v[94:95]
	s_waitcnt vmcnt(10)
	v_mul_f64 v[196:197], v[166:167], v[98:99]
	;; [unrolled: 2-line block ×4, first 2 shown]
	v_mul_f64 v[194:195], v[160:161], v[102:103]
	v_fma_f64 v[222:223], v[156:157], v[104:105], -v[186:187]
	v_mul_f64 v[190:191], v[156:157], v[106:107]
	v_fma_f64 v[192:193], v[160:161], v[100:101], -v[192:193]
	v_fmac_f64_e32 v[194:195], v[162:163], v[100:101]
	v_fma_f64 v[196:197], v[164:165], v[96:97], -v[196:197]
	v_mul_f64 v[198:199], v[164:165], v[98:99]
	s_waitcnt vmcnt(7)
	v_mul_f64 v[208:209], v[128:129], v[122:123]
	s_waitcnt vmcnt(6)
	;; [unrolled: 2-line block ×3, first 2 shown]
	v_mul_f64 v[214:215], v[150:151], v[114:115]
	v_mul_f64 v[204:205], v[130:131], v[122:123]
	v_mul_f64 v[212:213], v[132:133], v[118:119]
	v_mul_f64 v[216:217], v[148:149], v[114:115]
	v_fmac_f64_e32 v[208:209], v[130:131], v[120:121]
	v_fma_f64 v[130:131], v[132:133], v[116:117], -v[210:211]
	v_fma_f64 v[132:133], v[148:149], v[112:113], -v[214:215]
	s_waitcnt vmcnt(3)
	v_mul_f64 v[148:149], v[126:127], v[50:51]
	v_mul_f64 v[160:161], v[124:125], v[50:51]
	v_fma_f64 v[162:163], v[124:125], v[48:49], -v[148:149]
	v_add_f64 v[124:125], v[144:145], v[222:223]
	v_mul_f64 v[200:201], v[170:171], v[94:95]
	v_mul_f64 v[218:219], v[154:155], v[110:111]
	;; [unrolled: 1-line block ×3, first 2 shown]
	v_fmac_f64_e32 v[190:191], v[158:159], v[104:105]
	v_fmac_f64_e32 v[202:203], v[170:171], v[92:93]
	;; [unrolled: 1-line block ×3, first 2 shown]
	s_waitcnt vmcnt(2)
	v_mul_f64 v[150:151], v[174:175], v[58:59]
	v_fmac_f64_e32 v[160:161], v[126:127], v[48:49]
	v_add_f64 v[126:127], v[192:193], v[196:197]
	v_add_f64 v[124:125], v[124:125], v[192:193]
	v_fmac_f64_e32 v[198:199], v[166:167], v[96:97]
	v_fma_f64 v[200:201], v[168:169], v[92:93], -v[200:201]
	v_fmac_f64_e32 v[212:213], v[134:135], v[116:117]
	v_fma_f64 v[134:135], v[152:153], v[108:109], -v[218:219]
	v_fmac_f64_e32 v[220:221], v[154:155], v[108:109]
	s_waitcnt vmcnt(1)
	v_mul_f64 v[152:153], v[178:179], v[54:55]
	s_waitcnt vmcnt(0)
	v_mul_f64 v[154:155], v[182:183], v[46:47]
	v_fma_f64 v[166:167], v[172:173], v[56:57], -v[150:151]
	v_add_f64 v[150:151], v[190:191], -v[202:203]
	v_fma_f64 v[148:149], -0.5, v[126:127], v[144:145]
	v_add_f64 v[124:125], v[124:125], v[196:197]
	v_mul_f64 v[164:165], v[172:173], v[58:59]
	v_fma_f64 v[170:171], v[176:177], v[52:53], -v[152:153]
	v_fma_f64 v[172:173], v[180:181], v[44:45], -v[154:155]
	v_add_f64 v[154:155], v[194:195], -v[198:199]
	v_fma_f64 v[152:153], s[2:3], v[150:151], v[148:149]
	v_add_f64 v[156:157], v[124:125], v[200:201]
	v_add_f64 v[124:125], v[222:223], -v[192:193]
	v_add_f64 v[126:127], v[200:201], -v[196:197]
	v_fmac_f64_e32 v[148:149], s[18:19], v[150:151]
	v_fmac_f64_e32 v[152:153], s[14:15], v[154:155]
	v_add_f64 v[124:125], v[124:125], v[126:127]
	v_fmac_f64_e32 v[148:149], s[20:21], v[154:155]
	v_fmac_f64_e32 v[152:153], s[16:17], v[124:125]
	;; [unrolled: 1-line block ×3, first 2 shown]
	v_add_f64 v[124:125], v[222:223], v[200:201]
	v_fmac_f64_e32 v[144:145], -0.5, v[124:125]
	v_mul_f64 v[186:187], v[180:181], v[46:47]
	v_fma_f64 v[180:181], s[18:19], v[154:155], v[144:145]
	v_add_f64 v[124:125], v[192:193], -v[222:223]
	v_add_f64 v[126:127], v[196:197], -v[200:201]
	v_fmac_f64_e32 v[144:145], s[2:3], v[154:155]
	v_fmac_f64_e32 v[180:181], s[14:15], v[150:151]
	v_add_f64 v[124:125], v[124:125], v[126:127]
	v_fmac_f64_e32 v[144:145], s[20:21], v[150:151]
	v_fmac_f64_e32 v[180:181], s[16:17], v[124:125]
	;; [unrolled: 1-line block ×3, first 2 shown]
	v_add_f64 v[124:125], v[146:147], v[190:191]
	v_add_f64 v[124:125], v[124:125], v[194:195]
	;; [unrolled: 1-line block ×5, first 2 shown]
	v_fma_f64 v[150:151], -0.5, v[124:125], v[146:147]
	v_add_f64 v[124:125], v[222:223], -v[200:201]
	v_mul_f64 v[168:169], v[176:177], v[54:55]
	v_fmac_f64_e32 v[164:165], v[174:175], v[56:57]
	v_fma_f64 v[154:155], s[18:19], v[124:125], v[150:151]
	v_add_f64 v[126:127], v[192:193], -v[196:197]
	v_add_f64 v[174:175], v[190:191], -v[194:195]
	;; [unrolled: 1-line block ×3, first 2 shown]
	v_fmac_f64_e32 v[150:151], s[2:3], v[124:125]
	v_fmac_f64_e32 v[154:155], s[20:21], v[126:127]
	v_add_f64 v[174:175], v[174:175], v[176:177]
	v_fmac_f64_e32 v[150:151], s[14:15], v[126:127]
	v_fmac_f64_e32 v[154:155], s[16:17], v[174:175]
	;; [unrolled: 1-line block ×3, first 2 shown]
	v_add_f64 v[174:175], v[190:191], v[202:203]
	v_fmac_f64_e32 v[146:147], -0.5, v[174:175]
	v_fma_f64 v[128:129], v[128:129], v[120:121], -v[204:205]
	v_fmac_f64_e32 v[186:187], v[182:183], v[44:45]
	v_fma_f64 v[182:183], s[2:3], v[126:127], v[146:147]
	v_fmac_f64_e32 v[146:147], s[18:19], v[126:127]
	v_fmac_f64_e32 v[182:183], s[20:21], v[124:125]
	;; [unrolled: 1-line block ×3, first 2 shown]
	v_add_f64 v[124:125], v[140:141], v[128:129]
	v_add_f64 v[124:125], v[124:125], v[130:131]
	;; [unrolled: 1-line block ×3, first 2 shown]
	v_add_f64 v[174:175], v[194:195], -v[190:191]
	v_add_f64 v[176:177], v[198:199], -v[202:203]
	v_add_f64 v[190:191], v[124:125], v[134:135]
	v_add_f64 v[124:125], v[130:131], v[132:133]
	;; [unrolled: 1-line block ×3, first 2 shown]
	v_fma_f64 v[194:195], -0.5, v[124:125], v[140:141]
	v_add_f64 v[124:125], v[208:209], -v[220:221]
	v_fmac_f64_e32 v[182:183], s[16:17], v[174:175]
	v_fmac_f64_e32 v[146:147], s[16:17], v[174:175]
	v_fma_f64 v[198:199], s[2:3], v[124:125], v[194:195]
	v_add_f64 v[126:127], v[212:213], -v[216:217]
	v_add_f64 v[174:175], v[128:129], -v[130:131]
	;; [unrolled: 1-line block ×3, first 2 shown]
	v_fmac_f64_e32 v[194:195], s[18:19], v[124:125]
	v_fmac_f64_e32 v[198:199], s[14:15], v[126:127]
	v_add_f64 v[174:175], v[174:175], v[176:177]
	v_fmac_f64_e32 v[194:195], s[20:21], v[126:127]
	v_fmac_f64_e32 v[198:199], s[16:17], v[174:175]
	v_fmac_f64_e32 v[194:195], s[16:17], v[174:175]
	v_add_f64 v[174:175], v[128:129], v[134:135]
	v_fmac_f64_e32 v[140:141], -0.5, v[174:175]
	v_fma_f64 v[202:203], s[18:19], v[126:127], v[140:141]
	v_fmac_f64_e32 v[140:141], s[2:3], v[126:127]
	v_fmac_f64_e32 v[202:203], s[14:15], v[124:125]
	;; [unrolled: 1-line block ×3, first 2 shown]
	v_add_f64 v[124:125], v[142:143], v[208:209]
	v_add_f64 v[124:125], v[124:125], v[212:213]
	;; [unrolled: 1-line block ×5, first 2 shown]
	v_fma_f64 v[196:197], -0.5, v[124:125], v[142:143]
	v_add_f64 v[124:125], v[128:129], -v[134:135]
	v_add_f64 v[174:175], v[130:131], -v[128:129]
	v_fma_f64 v[200:201], s[18:19], v[124:125], v[196:197]
	v_add_f64 v[126:127], v[130:131], -v[132:133]
	v_add_f64 v[128:129], v[208:209], -v[212:213]
	v_add_f64 v[130:131], v[220:221], -v[216:217]
	v_fmac_f64_e32 v[196:197], s[2:3], v[124:125]
	v_fmac_f64_e32 v[200:201], s[20:21], v[126:127]
	v_add_f64 v[128:129], v[128:129], v[130:131]
	v_fmac_f64_e32 v[196:197], s[14:15], v[126:127]
	v_fmac_f64_e32 v[200:201], s[16:17], v[128:129]
	;; [unrolled: 1-line block ×3, first 2 shown]
	v_add_f64 v[128:129], v[208:209], v[220:221]
	v_fmac_f64_e32 v[142:143], -0.5, v[128:129]
	v_fma_f64 v[204:205], s[2:3], v[126:127], v[142:143]
	v_fmac_f64_e32 v[142:143], s[18:19], v[126:127]
	v_fmac_f64_e32 v[204:205], s[20:21], v[124:125]
	v_add_f64 v[128:129], v[212:213], -v[208:209]
	v_add_f64 v[130:131], v[216:217], -v[220:221]
	v_fmac_f64_e32 v[142:143], s[14:15], v[124:125]
	v_add_f64 v[124:125], v[166:167], v[170:171]
	v_fmac_f64_e32 v[168:169], v[178:179], v[52:53]
	v_add_f64 v[176:177], v[132:133], -v[134:135]
	v_add_f64 v[128:129], v[128:129], v[130:131]
	v_fma_f64 v[124:125], -0.5, v[124:125], v[136:137]
	v_add_f64 v[126:127], v[160:161], -v[186:187]
	v_add_f64 v[174:175], v[174:175], v[176:177]
	v_fmac_f64_e32 v[204:205], s[16:17], v[128:129]
	v_fmac_f64_e32 v[142:143], s[16:17], v[128:129]
	v_fma_f64 v[176:177], s[2:3], v[126:127], v[124:125]
	v_add_f64 v[130:131], v[164:165], -v[168:169]
	v_add_f64 v[128:129], v[162:163], -v[166:167]
	v_add_f64 v[132:133], v[172:173], -v[170:171]
	v_fmac_f64_e32 v[124:125], s[18:19], v[126:127]
	v_fmac_f64_e32 v[176:177], s[14:15], v[130:131]
	v_add_f64 v[128:129], v[128:129], v[132:133]
	v_fmac_f64_e32 v[124:125], s[20:21], v[130:131]
	v_fmac_f64_e32 v[176:177], s[16:17], v[128:129]
	;; [unrolled: 1-line block ×3, first 2 shown]
	v_add_f64 v[128:129], v[162:163], v[172:173]
	v_fma_f64 v[132:133], -0.5, v[128:129], v[136:137]
	v_fma_f64 v[128:129], s[18:19], v[130:131], v[132:133]
	v_fmac_f64_e32 v[132:133], s[2:3], v[130:131]
	v_fmac_f64_e32 v[202:203], s[16:17], v[174:175]
	;; [unrolled: 1-line block ×4, first 2 shown]
	v_add_f64 v[134:135], v[166:167], -v[162:163]
	v_add_f64 v[174:175], v[170:171], -v[172:173]
	v_fmac_f64_e32 v[132:133], s[20:21], v[126:127]
	v_add_f64 v[126:127], v[164:165], v[168:169]
	v_add_f64 v[134:135], v[134:135], v[174:175]
	v_fma_f64 v[126:127], -0.5, v[126:127], v[138:139]
	v_add_f64 v[174:175], v[162:163], -v[172:173]
	v_fmac_f64_e32 v[128:129], s[16:17], v[134:135]
	v_fmac_f64_e32 v[132:133], s[16:17], v[134:135]
	v_fma_f64 v[178:179], s[18:19], v[174:175], v[126:127]
	v_add_f64 v[208:209], v[166:167], -v[170:171]
	v_add_f64 v[130:131], v[160:161], -v[164:165]
	;; [unrolled: 1-line block ×3, first 2 shown]
	v_fmac_f64_e32 v[126:127], s[2:3], v[174:175]
	v_fmac_f64_e32 v[178:179], s[20:21], v[208:209]
	v_add_f64 v[130:131], v[130:131], v[134:135]
	v_fmac_f64_e32 v[126:127], s[14:15], v[208:209]
	v_fmac_f64_e32 v[178:179], s[16:17], v[130:131]
	v_fmac_f64_e32 v[126:127], s[16:17], v[130:131]
	v_add_f64 v[130:131], v[160:161], v[186:187]
	v_fma_f64 v[134:135], -0.5, v[130:131], v[138:139]
	v_fma_f64 v[130:131], s[2:3], v[208:209], v[134:135]
	s_movk_i32 s2, 0xa5
	v_add_f64 v[210:211], v[164:165], -v[160:161]
	v_add_f64 v[212:213], v[168:169], -v[186:187]
	v_fmac_f64_e32 v[134:135], s[18:19], v[208:209]
	v_mad_legacy_u16 v0, v0, s2, v1
	v_fmac_f64_e32 v[130:131], s[20:21], v[174:175]
	v_add_f64 v[210:211], v[210:211], v[212:213]
	v_fmac_f64_e32 v[134:135], s[14:15], v[174:175]
	v_lshlrev_b32_e32 v235, 4, v0
	v_lshlrev_b32_e32 v0, 4, v2
	v_fmac_f64_e32 v[130:131], s[16:17], v[210:211]
	v_fmac_f64_e32 v[134:135], s[16:17], v[210:211]
	v_accvgpr_write_b32 a23, v0
	ds_write_b128 v234, v[156:159]
	ds_write_b128 v234, v[152:155] offset:528
	ds_write_b128 v234, v[180:183] offset:1056
	;; [unrolled: 1-line block ×4, first 2 shown]
	ds_write_b128 v235, v[190:193]
	ds_write_b128 v235, v[198:201] offset:528
	ds_write_b128 v235, v[202:205] offset:1056
	;; [unrolled: 1-line block ×4, first 2 shown]
	s_and_saveexec_b64 s[2:3], s[0:1]
	s_cbranch_execz .LBB0_9
; %bb.8:
	v_add_f64 v[138:139], v[138:139], v[160:161]
	v_add_f64 v[136:137], v[136:137], v[162:163]
	;; [unrolled: 1-line block ×8, first 2 shown]
	v_accvgpr_read_b32 v0, a23
	ds_write_b128 v0, v[136:139] offset:26400
	ds_write_b128 v0, v[176:179] offset:26928
	;; [unrolled: 1-line block ×5, first 2 shown]
.LBB0_9:
	s_or_b64 exec, exec, s[2:3]
	s_movk_i32 s2, 0xa0
	v_mov_b64_e32 v[136:137], s[10:11]
	v_mad_u64_u32 v[168:169], s[2:3], v226, s2, v[136:137]
	s_waitcnt lgkmcnt(0)
	s_barrier
	global_load_dwordx4 v[148:151], v[168:169], off offset:2464
	global_load_dwordx4 v[144:147], v[168:169], off offset:2480
	;; [unrolled: 1-line block ×9, first 2 shown]
	s_nop 0
	global_load_dwordx4 v[168:171], v[168:169], off offset:2608
	ds_read_b128 v[208:211], v224
	ds_read_b128 v[180:183], v224 offset:2640
	ds_read_b128 v[188:191], v224 offset:5280
	;; [unrolled: 1-line block ×10, first 2 shown]
	v_mov_b32_e32 v225, v185
	v_lshl_add_u64 v[196:197], s[8:9], 0, v[224:225]
	s_mov_b32 s18, 0xf8bb580b
	s_mov_b32 s10, 0x8eee2c13
	;; [unrolled: 1-line block ×26, first 2 shown]
	s_movk_i32 s2, 0x7000
	s_waitcnt vmcnt(9) lgkmcnt(9)
	v_mul_f64 v[254:255], v[180:181], v[150:151]
	v_mul_f64 v[252:253], v[182:183], v[150:151]
	s_waitcnt vmcnt(8) lgkmcnt(8)
	v_mul_f64 v[232:233], v[188:189], v[146:147]
	s_waitcnt vmcnt(7) lgkmcnt(7)
	;; [unrolled: 2-line block ×3, first 2 shown]
	v_mul_f64 v[2:3], v[214:215], v[138:139]
	v_fmac_f64_e32 v[254:255], v[182:183], v[148:149]
	v_mul_f64 v[230:231], v[190:191], v[146:147]
	s_waitcnt vmcnt(2) lgkmcnt(2)
	v_mul_f64 v[10:11], v[242:243], v[154:155]
	v_mul_f64 v[202:203], v[198:199], v[142:143]
	;; [unrolled: 1-line block ×3, first 2 shown]
	v_fma_f64 v[180:181], v[180:181], v[148:149], -v[252:253]
	v_fmac_f64_e32 v[232:233], v[190:191], v[144:145]
	v_fma_f64 v[0:1], v[198:199], v[140:141], -v[0:1]
	v_fma_f64 v[198:199], v[212:213], v[136:137], -v[2:3]
	;; [unrolled: 1-line block ×3, first 2 shown]
	v_add_f64 v[10:11], v[210:211], v[254:255]
	v_mul_f64 v[192:193], v[212:213], v[138:139]
	v_fma_f64 v[230:231], v[188:189], v[144:145], -v[230:231]
	v_fmac_f64_e32 v[202:203], v[200:201], v[140:141]
	v_fma_f64 v[200:201], v[236:237], v[156:157], -v[8:9]
	v_add_f64 v[8:9], v[208:209], v[180:181]
	v_add_f64 v[10:11], v[10:11], v[232:233]
	v_mul_f64 v[184:185], v[216:217], v[166:167]
	v_fmac_f64_e32 v[192:193], v[214:215], v[136:137]
	v_add_f64 v[8:9], v[8:9], v[230:231]
	v_add_f64 v[10:11], v[10:11], v[202:203]
	v_mul_f64 v[4:5], v[218:219], v[166:167]
	v_mul_f64 v[186:187], v[220:221], v[162:163]
	v_fmac_f64_e32 v[184:185], v[218:219], v[164:165]
	v_add_f64 v[8:9], v[8:9], v[0:1]
	v_add_f64 v[10:11], v[10:11], v[192:193]
	v_mul_f64 v[6:7], v[222:223], v[162:163]
	v_mul_f64 v[194:195], v[236:237], v[158:159]
	v_fma_f64 v[188:189], v[216:217], v[164:165], -v[4:5]
	v_fmac_f64_e32 v[186:187], v[222:223], v[160:161]
	v_add_f64 v[8:9], v[8:9], v[198:199]
	v_add_f64 v[10:11], v[10:11], v[184:185]
	v_mul_f64 v[204:205], v[240:241], v[154:155]
	v_fma_f64 v[190:191], v[220:221], v[160:161], -v[6:7]
	v_fmac_f64_e32 v[194:195], v[238:239], v[156:157]
	v_add_f64 v[8:9], v[8:9], v[188:189]
	v_add_f64 v[10:11], v[10:11], v[186:187]
	s_waitcnt vmcnt(1) lgkmcnt(1)
	v_mul_f64 v[14:15], v[244:245], v[174:175]
	s_waitcnt vmcnt(0) lgkmcnt(0)
	v_mul_f64 v[16:17], v[250:251], v[170:171]
	v_fmac_f64_e32 v[204:205], v[242:243], v[152:153]
	v_add_f64 v[8:9], v[8:9], v[190:191]
	v_add_f64 v[10:11], v[10:11], v[194:195]
	v_mul_f64 v[12:13], v[246:247], v[174:175]
	v_mul_f64 v[18:19], v[248:249], v[170:171]
	v_fmac_f64_e32 v[14:15], v[246:247], v[172:173]
	v_fma_f64 v[6:7], v[248:249], v[168:169], -v[16:17]
	v_add_f64 v[8:9], v[8:9], v[200:201]
	v_add_f64 v[10:11], v[10:11], v[204:205]
	v_fma_f64 v[4:5], v[244:245], v[172:173], -v[12:13]
	v_fmac_f64_e32 v[18:19], v[250:251], v[168:169]
	v_add_f64 v[212:213], v[180:181], -v[6:7]
	v_add_f64 v[8:9], v[8:9], v[2:3]
	v_add_f64 v[10:11], v[10:11], v[14:15]
	;; [unrolled: 1-line block ×3, first 2 shown]
	v_add_f64 v[214:215], v[254:255], -v[18:19]
	v_add_f64 v[8:9], v[8:9], v[4:5]
	v_add_f64 v[182:183], v[10:11], v[18:19]
	v_mul_f64 v[10:11], v[212:213], s[18:19]
	v_mul_f64 v[220:221], v[212:213], s[10:11]
	;; [unrolled: 1-line block ×5, first 2 shown]
	v_add_f64 v[12:13], v[180:181], v[6:7]
	v_add_f64 v[180:181], v[8:9], v[6:7]
	v_mul_f64 v[6:7], v[214:215], s[18:19]
	v_fma_f64 v[18:19], s[20:21], v[16:17], v[10:11]
	v_fma_f64 v[10:11], v[16:17], s[20:21], -v[10:11]
	v_mul_f64 v[216:217], v[214:215], s[10:11]
	v_fma_f64 v[222:223], s[14:15], v[16:17], v[220:221]
	v_fma_f64 v[220:221], v[16:17], s[14:15], -v[220:221]
	;; [unrolled: 3-line block ×5, first 2 shown]
	v_fma_f64 v[8:9], v[12:13], s[20:21], -v[6:7]
	v_add_f64 v[18:19], v[210:211], v[18:19]
	v_fmac_f64_e32 v[6:7], s[20:21], v[12:13]
	v_add_f64 v[10:11], v[210:211], v[10:11]
	v_fma_f64 v[218:219], v[12:13], s[14:15], -v[216:217]
	v_add_f64 v[222:223], v[210:211], v[222:223]
	v_fmac_f64_e32 v[216:217], s[14:15], v[12:13]
	v_add_f64 v[220:221], v[210:211], v[220:221]
	v_fma_f64 v[238:239], v[12:13], s[16:17], -v[236:237]
	v_add_f64 v[242:243], v[210:211], v[242:243]
	v_fmac_f64_e32 v[236:237], s[16:17], v[12:13]
	v_add_f64 v[240:241], v[210:211], v[240:241]
	v_fma_f64 v[246:247], v[12:13], s[24:25], -v[244:245]
	v_add_f64 v[250:251], v[210:211], v[250:251]
	v_fmac_f64_e32 v[244:245], s[24:25], v[12:13]
	v_add_f64 v[248:249], v[210:211], v[248:249]
	v_fma_f64 v[252:253], v[12:13], s[30:31], -v[214:215]
	v_add_f64 v[254:255], v[210:211], v[254:255]
	v_fmac_f64_e32 v[214:215], s[30:31], v[12:13]
	v_add_f64 v[16:17], v[210:211], v[16:17]
	v_add_f64 v[210:211], v[232:233], v[14:15]
	v_add_f64 v[14:15], v[232:233], -v[14:15]
	v_add_f64 v[8:9], v[208:209], v[8:9]
	v_add_f64 v[6:7], v[208:209], v[6:7]
	;; [unrolled: 1-line block ×11, first 2 shown]
	v_mul_f64 v[212:213], v[14:15], s[10:11]
	v_add_f64 v[4:5], v[230:231], -v[4:5]
	v_fma_f64 v[214:215], v[208:209], s[14:15], -v[212:213]
	v_add_f64 v[8:9], v[214:215], v[8:9]
	v_mul_f64 v[214:215], v[4:5], s[10:11]
	v_fmac_f64_e32 v[212:213], s[14:15], v[208:209]
	v_add_f64 v[6:7], v[212:213], v[6:7]
	v_fma_f64 v[212:213], v[210:211], s[14:15], -v[214:215]
	v_add_f64 v[10:11], v[212:213], v[10:11]
	v_mul_f64 v[212:213], v[14:15], s[22:23]
	v_fma_f64 v[230:231], s[14:15], v[210:211], v[214:215]
	v_fma_f64 v[214:215], v[208:209], s[24:25], -v[212:213]
	v_add_f64 v[214:215], v[214:215], v[218:219]
	v_mul_f64 v[218:219], v[4:5], s[22:23]
	v_fmac_f64_e32 v[212:213], s[24:25], v[208:209]
	v_add_f64 v[18:19], v[230:231], v[18:19]
	v_fma_f64 v[230:231], s[24:25], v[210:211], v[218:219]
	v_add_f64 v[212:213], v[212:213], v[216:217]
	v_fma_f64 v[216:217], v[210:211], s[24:25], -v[218:219]
	v_mul_f64 v[218:219], v[14:15], s[34:35]
	v_add_f64 v[216:217], v[216:217], v[220:221]
	v_fma_f64 v[220:221], v[208:209], s[30:31], -v[218:219]
	v_fmac_f64_e32 v[218:219], s[30:31], v[208:209]
	v_add_f64 v[222:223], v[230:231], v[222:223]
	v_mul_f64 v[230:231], v[4:5], s[34:35]
	v_add_f64 v[218:219], v[218:219], v[236:237]
	v_mul_f64 v[236:237], v[14:15], s[26:27]
	v_add_f64 v[220:221], v[220:221], v[238:239]
	v_fma_f64 v[232:233], s[30:31], v[210:211], v[230:231]
	v_fma_f64 v[230:231], v[210:211], s[30:31], -v[230:231]
	v_fma_f64 v[238:239], v[208:209], s[16:17], -v[236:237]
	v_fmac_f64_e32 v[236:237], s[16:17], v[208:209]
	v_mul_f64 v[14:15], v[14:15], s[36:37]
	v_add_f64 v[230:231], v[230:231], v[240:241]
	v_mul_f64 v[240:241], v[4:5], s[26:27]
	v_add_f64 v[236:237], v[236:237], v[244:245]
	v_fma_f64 v[244:245], v[208:209], s[20:21], -v[14:15]
	v_mul_f64 v[4:5], v[4:5], s[36:37]
	v_fmac_f64_e32 v[14:15], s[20:21], v[208:209]
	v_add_f64 v[238:239], v[238:239], v[246:247]
	v_fma_f64 v[246:247], s[20:21], v[210:211], v[4:5]
	v_add_f64 v[12:13], v[14:15], v[12:13]
	v_fma_f64 v[4:5], v[210:211], s[20:21], -v[4:5]
	v_add_f64 v[14:15], v[0:1], v[2:3]
	v_add_f64 v[0:1], v[0:1], -v[2:3]
	v_add_f64 v[2:3], v[202:203], -v[204:205]
	v_add_f64 v[4:5], v[4:5], v[16:17]
	v_add_f64 v[16:17], v[202:203], v[204:205]
	v_mul_f64 v[202:203], v[2:3], s[8:9]
	v_fma_f64 v[204:205], v[14:15], s[16:17], -v[202:203]
	v_add_f64 v[8:9], v[204:205], v[8:9]
	v_mul_f64 v[204:205], v[0:1], s[8:9]
	v_fmac_f64_e32 v[202:203], s[16:17], v[14:15]
	v_add_f64 v[6:7], v[202:203], v[6:7]
	v_fma_f64 v[202:203], v[16:17], s[16:17], -v[204:205]
	v_fma_f64 v[208:209], s[16:17], v[16:17], v[204:205]
	v_add_f64 v[10:11], v[202:203], v[10:11]
	v_mul_f64 v[202:203], v[2:3], s[34:35]
	v_add_f64 v[18:19], v[208:209], v[18:19]
	v_fma_f64 v[204:205], v[14:15], s[30:31], -v[202:203]
	v_mul_f64 v[208:209], v[0:1], s[34:35]
	v_fmac_f64_e32 v[202:203], s[30:31], v[14:15]
	v_add_f64 v[232:233], v[232:233], v[242:243]
	v_fma_f64 v[242:243], s[16:17], v[210:211], v[240:241]
	v_fma_f64 v[240:241], v[210:211], s[16:17], -v[240:241]
	v_fma_f64 v[210:211], s[30:31], v[16:17], v[208:209]
	v_add_f64 v[202:203], v[202:203], v[212:213]
	v_fma_f64 v[208:209], v[16:17], s[30:31], -v[208:209]
	v_mul_f64 v[212:213], v[2:3], s[38:39]
	v_add_f64 v[204:205], v[204:205], v[214:215]
	v_add_f64 v[208:209], v[208:209], v[216:217]
	v_fma_f64 v[214:215], v[14:15], s[14:15], -v[212:213]
	v_mul_f64 v[216:217], v[0:1], s[38:39]
	v_fmac_f64_e32 v[212:213], s[14:15], v[14:15]
	v_add_f64 v[214:215], v[214:215], v[220:221]
	v_fma_f64 v[220:221], s[14:15], v[16:17], v[216:217]
	v_add_f64 v[212:213], v[212:213], v[218:219]
	v_fma_f64 v[216:217], v[16:17], s[14:15], -v[216:217]
	v_mul_f64 v[218:219], v[2:3], s[18:19]
	v_add_f64 v[210:211], v[210:211], v[222:223]
	v_add_f64 v[216:217], v[216:217], v[230:231]
	v_fma_f64 v[222:223], v[14:15], s[20:21], -v[218:219]
	v_mul_f64 v[230:231], v[0:1], s[18:19]
	v_fmac_f64_e32 v[218:219], s[20:21], v[14:15]
	v_mul_f64 v[2:3], v[2:3], s[22:23]
	v_mul_f64 v[0:1], v[0:1], s[22:23]
	v_add_f64 v[220:221], v[220:221], v[232:233]
	v_add_f64 v[222:223], v[222:223], v[238:239]
	v_fma_f64 v[232:233], s[20:21], v[16:17], v[230:231]
	v_add_f64 v[218:219], v[218:219], v[236:237]
	v_fma_f64 v[230:231], v[16:17], s[20:21], -v[230:231]
	v_fma_f64 v[236:237], v[14:15], s[24:25], -v[2:3]
	v_fma_f64 v[238:239], s[24:25], v[16:17], v[0:1]
	v_fmac_f64_e32 v[2:3], s[24:25], v[14:15]
	v_fma_f64 v[0:1], v[16:17], s[24:25], -v[0:1]
	v_add_f64 v[16:17], v[192:193], -v[194:195]
	v_add_f64 v[2:3], v[2:3], v[12:13]
	v_add_f64 v[0:1], v[0:1], v[4:5]
	;; [unrolled: 1-line block ×4, first 2 shown]
	v_mul_f64 v[192:193], v[16:17], s[22:23]
	v_add_f64 v[14:15], v[198:199], -v[200:201]
	v_fma_f64 v[194:195], v[4:5], s[24:25], -v[192:193]
	v_add_f64 v[8:9], v[194:195], v[8:9]
	v_mul_f64 v[194:195], v[14:15], s[22:23]
	v_fmac_f64_e32 v[192:193], s[24:25], v[4:5]
	v_add_f64 v[6:7], v[192:193], v[6:7]
	v_fma_f64 v[192:193], v[12:13], s[24:25], -v[194:195]
	v_fma_f64 v[198:199], s[24:25], v[12:13], v[194:195]
	v_add_f64 v[10:11], v[192:193], v[10:11]
	v_mul_f64 v[192:193], v[16:17], s[26:27]
	v_add_f64 v[18:19], v[198:199], v[18:19]
	v_fma_f64 v[194:195], v[4:5], s[16:17], -v[192:193]
	v_mul_f64 v[198:199], v[14:15], s[26:27]
	v_fmac_f64_e32 v[192:193], s[16:17], v[4:5]
	v_add_f64 v[202:203], v[192:193], v[202:203]
	v_fma_f64 v[192:193], v[12:13], s[16:17], -v[198:199]
	v_add_f64 v[194:195], v[194:195], v[204:205]
	v_add_f64 v[204:205], v[192:193], v[208:209]
	v_mul_f64 v[192:193], v[16:17], s[18:19]
	v_fma_f64 v[200:201], s[16:17], v[12:13], v[198:199]
	v_fma_f64 v[198:199], v[4:5], s[20:21], -v[192:193]
	v_add_f64 v[208:209], v[198:199], v[214:215]
	v_mul_f64 v[198:199], v[14:15], s[18:19]
	v_fmac_f64_e32 v[192:193], s[20:21], v[4:5]
	v_add_f64 v[212:213], v[192:193], v[212:213]
	v_fma_f64 v[192:193], v[12:13], s[20:21], -v[198:199]
	v_add_f64 v[214:215], v[192:193], v[216:217]
	v_mul_f64 v[192:193], v[16:17], s[28:29]
	v_add_f64 v[200:201], v[200:201], v[210:211]
	v_fma_f64 v[210:211], s[20:21], v[12:13], v[198:199]
	v_fma_f64 v[198:199], v[4:5], s[30:31], -v[192:193]
	v_add_f64 v[240:241], v[240:241], v[248:249]
	v_add_f64 v[216:217], v[198:199], v[222:223]
	v_mul_f64 v[198:199], v[14:15], s[28:29]
	v_fmac_f64_e32 v[192:193], s[30:31], v[4:5]
	v_add_f64 v[230:231], v[230:231], v[240:241]
	v_add_f64 v[218:219], v[192:193], v[218:219]
	v_fma_f64 v[192:193], v[12:13], s[30:31], -v[198:199]
	v_mul_f64 v[16:17], v[16:17], s[38:39]
	v_add_f64 v[244:245], v[244:245], v[252:253]
	v_add_f64 v[222:223], v[192:193], v[230:231]
	v_fma_f64 v[192:193], v[4:5], s[14:15], -v[16:17]
	v_mul_f64 v[14:15], v[14:15], s[38:39]
	v_fmac_f64_e32 v[16:17], s[14:15], v[4:5]
	v_add_f64 v[236:237], v[236:237], v[244:245]
	v_add_f64 v[2:3], v[16:17], v[2:3]
	v_fma_f64 v[4:5], v[12:13], s[14:15], -v[14:15]
	v_add_f64 v[16:17], v[184:185], -v[186:187]
	v_add_f64 v[230:231], v[192:193], v[236:237]
	v_fma_f64 v[192:193], s[14:15], v[12:13], v[14:15]
	v_add_f64 v[0:1], v[4:5], v[0:1]
	v_add_f64 v[4:5], v[188:189], v[190:191]
	v_add_f64 v[14:15], v[188:189], -v[190:191]
	v_mul_f64 v[188:189], v[16:17], s[28:29]
	v_add_f64 v[210:211], v[210:211], v[220:221]
	v_fma_f64 v[220:221], s[30:31], v[12:13], v[198:199]
	v_add_f64 v[12:13], v[184:185], v[186:187]
	v_fma_f64 v[184:185], v[4:5], s[30:31], -v[188:189]
	v_add_f64 v[184:185], v[184:185], v[8:9]
	v_mul_f64 v[8:9], v[14:15], s[28:29]
	v_fmac_f64_e32 v[188:189], s[30:31], v[4:5]
	v_add_f64 v[188:189], v[188:189], v[6:7]
	v_fma_f64 v[6:7], v[12:13], s[30:31], -v[8:9]
	v_add_f64 v[242:243], v[242:243], v[250:251]
	v_add_f64 v[246:247], v[246:247], v[254:255]
	;; [unrolled: 1-line block ×3, first 2 shown]
	v_mul_f64 v[6:7], v[16:17], s[36:37]
	v_add_f64 v[232:233], v[232:233], v[242:243]
	v_add_f64 v[238:239], v[238:239], v[246:247]
	v_fma_f64 v[186:187], s[30:31], v[12:13], v[8:9]
	v_fma_f64 v[8:9], v[4:5], s[20:21], -v[6:7]
	v_add_f64 v[220:221], v[220:221], v[232:233]
	v_add_f64 v[232:233], v[192:193], v[238:239]
	;; [unrolled: 1-line block ×3, first 2 shown]
	v_mul_f64 v[8:9], v[14:15], s[36:37]
	v_fmac_f64_e32 v[6:7], s[20:21], v[4:5]
	v_fma_f64 v[10:11], s[20:21], v[12:13], v[8:9]
	v_add_f64 v[198:199], v[6:7], v[202:203]
	v_fma_f64 v[6:7], v[12:13], s[20:21], -v[8:9]
	v_add_f64 v[194:195], v[10:11], v[200:201]
	v_add_f64 v[200:201], v[6:7], v[204:205]
	v_mul_f64 v[6:7], v[16:17], s[22:23]
	v_fma_f64 v[8:9], v[4:5], s[24:25], -v[6:7]
	v_add_f64 v[202:203], v[8:9], v[208:209]
	v_mul_f64 v[8:9], v[14:15], s[22:23]
	v_fmac_f64_e32 v[6:7], s[24:25], v[4:5]
	v_fma_f64 v[10:11], s[24:25], v[12:13], v[8:9]
	v_add_f64 v[208:209], v[6:7], v[212:213]
	v_fma_f64 v[6:7], v[12:13], s[24:25], -v[8:9]
	v_add_f64 v[204:205], v[10:11], v[210:211]
	v_add_f64 v[210:211], v[6:7], v[214:215]
	v_mul_f64 v[6:7], v[16:17], s[38:39]
	v_fma_f64 v[8:9], v[4:5], s[14:15], -v[6:7]
	v_add_f64 v[212:213], v[8:9], v[216:217]
	v_mul_f64 v[8:9], v[14:15], s[38:39]
	v_fmac_f64_e32 v[6:7], s[14:15], v[4:5]
	v_add_f64 v[216:217], v[6:7], v[218:219]
	v_fma_f64 v[6:7], v[12:13], s[14:15], -v[8:9]
	v_add_f64 v[218:219], v[6:7], v[222:223]
	v_mul_f64 v[6:7], v[16:17], s[8:9]
	v_fma_f64 v[10:11], s[14:15], v[12:13], v[8:9]
	v_fma_f64 v[8:9], v[4:5], s[16:17], -v[6:7]
	v_add_f64 v[214:215], v[10:11], v[220:221]
	v_add_f64 v[220:221], v[8:9], v[230:231]
	v_mul_f64 v[8:9], v[14:15], s[8:9]
	v_fmac_f64_e32 v[6:7], s[16:17], v[4:5]
	v_add_f64 v[236:237], v[6:7], v[2:3]
	v_fma_f64 v[2:3], v[12:13], s[16:17], -v[8:9]
	v_add_f64 v[238:239], v[2:3], v[0:1]
	v_add_co_u32_e64 v0, s[2:3], s2, v196
	v_fma_f64 v[10:11], s[16:17], v[12:13], v[8:9]
	s_nop 0
	v_addc_co_u32_e64 v1, s[2:3], 0, v197, s[2:3]
	v_add_f64 v[186:187], v[186:187], v[18:19]
	v_add_f64 v[222:223], v[10:11], v[232:233]
	ds_write_b128 v224, v[180:183]
	ds_write_b128 v224, v[184:187] offset:2640
	ds_write_b128 v224, v[192:195] offset:5280
	;; [unrolled: 1-line block ×10, first 2 shown]
	s_waitcnt lgkmcnt(0)
	s_barrier
	global_load_dwordx4 v[180:183], v[0:1], off offset:368
	s_mov_b64 s[2:3], 0x7170
	v_lshl_add_u64 v[0:1], v[196:197], 0, s[2:3]
	global_load_dwordx4 v[184:187], v[0:1], off offset:2640
	s_mov_b32 s2, 0x8000
	v_add_co_u32_e64 v0, s[2:3], s2, v196
	s_nop 1
	v_addc_co_u32_e64 v1, s[2:3], 0, v197, s[2:3]
	global_load_dwordx4 v[188:191], v[0:1], off offset:1552
	s_mov_b32 s2, 0x9000
	v_add_co_u32_e64 v0, s[2:3], s2, v196
	s_nop 1
	v_addc_co_u32_e64 v1, s[2:3], 0, v197, s[2:3]
	global_load_dwordx4 v[192:195], v[0:1], off offset:96
	global_load_dwordx4 v[198:201], v[0:1], off offset:2736
	s_mov_b32 s2, 0xa000
	v_add_co_u32_e64 v0, s[2:3], s2, v196
	s_nop 1
	v_addc_co_u32_e64 v1, s[2:3], 0, v197, s[2:3]
	global_load_dwordx4 v[202:205], v[0:1], off offset:1280
	;; [unrolled: 6-line block ×3, first 2 shown]
	s_mov_b32 s2, 0xc000
	v_add_co_u32_e64 v0, s[2:3], s2, v196
	s_nop 1
	v_addc_co_u32_e64 v1, s[2:3], 0, v197, s[2:3]
	global_load_dwordx4 v[216:219], v[0:1], off offset:1008
	global_load_dwordx4 v[220:223], v[0:1], off offset:3648
	s_mov_b32 s2, 0xd000
	v_add_co_u32_e64 v0, s[2:3], s2, v196
	s_nop 1
	v_addc_co_u32_e64 v1, s[2:3], 0, v197, s[2:3]
	global_load_dwordx4 v[236:239], v[0:1], off offset:2192
	ds_read_b128 v[240:243], v224
	ds_read_b128 v[244:247], v224 offset:2640
	s_mov_b32 s3, 0x3fe82f19
	s_mov_b32 s2, s22
	s_waitcnt vmcnt(10) lgkmcnt(1)
	v_mul_f64 v[0:1], v[242:243], v[182:183]
	v_mul_f64 v[250:251], v[240:241], v[182:183]
	v_fma_f64 v[248:249], v[240:241], v[180:181], -v[0:1]
	v_fmac_f64_e32 v[250:251], v[242:243], v[180:181]
	ds_read_b128 v[240:243], v224 offset:5280
	s_waitcnt vmcnt(9) lgkmcnt(1)
	v_mul_f64 v[0:1], v[246:247], v[186:187]
	v_mul_f64 v[182:183], v[244:245], v[186:187]
	v_fma_f64 v[180:181], v[244:245], v[184:185], -v[0:1]
	v_fmac_f64_e32 v[182:183], v[246:247], v[184:185]
	ds_write_b128 v224, v[180:183] offset:2640
	ds_read_b128 v[180:183], v224 offset:7920
	s_waitcnt vmcnt(8) lgkmcnt(2)
	v_mul_f64 v[0:1], v[242:243], v[190:191]
	v_mul_f64 v[186:187], v[240:241], v[190:191]
	v_fma_f64 v[184:185], v[240:241], v[188:189], -v[0:1]
	v_fmac_f64_e32 v[186:187], v[242:243], v[188:189]
	ds_read_b128 v[188:191], v224 offset:10560
	ds_write_b128 v224, v[184:187] offset:5280
	s_waitcnt vmcnt(7) lgkmcnt(2)
	v_mul_f64 v[0:1], v[182:183], v[194:195]
	v_mul_f64 v[186:187], v[180:181], v[194:195]
	v_fma_f64 v[184:185], v[180:181], v[192:193], -v[0:1]
	v_fmac_f64_e32 v[186:187], v[182:183], v[192:193]
	ds_read_b128 v[180:183], v224 offset:13200
	ds_write_b128 v224, v[184:187] offset:7920
	;; [unrolled: 7-line block ×6, first 2 shown]
	s_waitcnt vmcnt(2) lgkmcnt(3)
	v_mul_f64 v[0:1], v[190:191], v[218:219]
	v_mul_f64 v[186:187], v[188:189], v[218:219]
	v_fma_f64 v[184:185], v[188:189], v[216:217], -v[0:1]
	v_fmac_f64_e32 v[186:187], v[190:191], v[216:217]
	ds_write_b128 v224, v[184:187] offset:21120
	ds_read_b128 v[184:187], v224 offset:26400
	s_waitcnt vmcnt(1) lgkmcnt(3)
	v_mul_f64 v[0:1], v[182:183], v[222:223]
	v_mul_f64 v[190:191], v[180:181], v[222:223]
	v_fma_f64 v[188:189], v[180:181], v[220:221], -v[0:1]
	v_fmac_f64_e32 v[190:191], v[182:183], v[220:221]
	s_waitcnt vmcnt(0) lgkmcnt(0)
	v_mul_f64 v[0:1], v[186:187], v[238:239]
	v_mul_f64 v[182:183], v[184:185], v[238:239]
	v_fma_f64 v[180:181], v[184:185], v[236:237], -v[0:1]
	v_fmac_f64_e32 v[182:183], v[186:187], v[236:237]
	ds_write_b128 v224, v[248:251]
	ds_write_b128 v224, v[188:191] offset:23760
	ds_write_b128 v224, v[180:183] offset:26400
	s_waitcnt lgkmcnt(0)
	s_barrier
	ds_read_b128 v[196:199], v224
	ds_read_b128 v[200:203], v224 offset:2640
	ds_read_b128 v[208:211], v224 offset:5280
	;; [unrolled: 1-line block ×10, first 2 shown]
	s_waitcnt lgkmcnt(9)
	v_add_f64 v[2:3], v[198:199], v[202:203]
	v_add_f64 v[0:1], v[196:197], v[200:201]
	s_waitcnt lgkmcnt(8)
	v_add_f64 v[2:3], v[2:3], v[210:211]
	v_add_f64 v[0:1], v[0:1], v[208:209]
	;; [unrolled: 3-line block ×10, first 2 shown]
	v_add_f64 v[184:185], v[0:1], v[240:241]
	v_add_f64 v[0:1], v[200:201], v[240:241]
	v_add_f64 v[4:5], v[200:201], -v[240:241]
	v_add_f64 v[6:7], v[202:203], -v[242:243]
	v_mul_f64 v[12:13], v[2:3], s[20:21]
	v_mul_f64 v[200:201], v[2:3], s[14:15]
	v_mul_f64 v[232:233], v[2:3], s[16:17]
	v_mul_f64 v[246:247], v[2:3], s[24:25]
	v_mul_f64 v[2:3], v[2:3], s[30:31]
	v_mul_f64 v[8:9], v[6:7], s[18:19]
	v_fma_f64 v[14:15], s[36:37], v[4:5], v[12:13]
	v_fmac_f64_e32 v[12:13], s[18:19], v[4:5]
	v_mul_f64 v[16:17], v[6:7], s[10:11]
	v_fma_f64 v[202:203], s[38:39], v[4:5], v[200:201]
	v_fmac_f64_e32 v[200:201], s[10:11], v[4:5]
	v_mul_f64 v[204:205], v[6:7], s[8:9]
	;; [unrolled: 3-line block ×4, first 2 shown]
	v_fma_f64 v[252:253], s[34:35], v[4:5], v[2:3]
	v_fmac_f64_e32 v[2:3], s[28:29], v[4:5]
	v_fma_f64 v[10:11], s[20:21], v[0:1], v[8:9]
	v_add_f64 v[14:15], v[198:199], v[14:15]
	v_fma_f64 v[8:9], v[0:1], s[20:21], -v[8:9]
	v_add_f64 v[12:13], v[198:199], v[12:13]
	v_fma_f64 v[18:19], s[14:15], v[0:1], v[16:17]
	v_add_f64 v[202:203], v[198:199], v[202:203]
	v_fma_f64 v[16:17], v[0:1], s[14:15], -v[16:17]
	v_add_f64 v[200:201], v[198:199], v[200:201]
	;; [unrolled: 4-line block ×5, first 2 shown]
	v_add_f64 v[198:199], v[210:211], -v[238:239]
	v_add_f64 v[10:11], v[196:197], v[10:11]
	v_add_f64 v[8:9], v[196:197], v[8:9]
	;; [unrolled: 1-line block ×11, first 2 shown]
	v_add_f64 v[196:197], v[208:209], -v[236:237]
	v_mul_f64 v[208:209], v[198:199], s[10:11]
	v_add_f64 v[6:7], v[210:211], v[238:239]
	v_fma_f64 v[210:211], s[14:15], v[4:5], v[208:209]
	v_add_f64 v[10:11], v[210:211], v[10:11]
	v_mul_f64 v[210:211], v[6:7], s[14:15]
	v_fma_f64 v[208:209], v[4:5], s[14:15], -v[208:209]
	v_fma_f64 v[236:237], s[38:39], v[196:197], v[210:211]
	v_add_f64 v[8:9], v[208:209], v[8:9]
	v_fmac_f64_e32 v[210:211], s[10:11], v[196:197]
	v_mul_f64 v[208:209], v[198:199], s[22:23]
	v_add_f64 v[12:13], v[210:211], v[12:13]
	v_fma_f64 v[210:211], s[24:25], v[4:5], v[208:209]
	v_add_f64 v[18:19], v[210:211], v[18:19]
	v_mul_f64 v[210:211], v[6:7], s[24:25]
	v_fma_f64 v[208:209], v[4:5], s[24:25], -v[208:209]
	v_add_f64 v[14:15], v[236:237], v[14:15]
	v_fma_f64 v[236:237], s[2:3], v[196:197], v[210:211]
	v_add_f64 v[16:17], v[208:209], v[16:17]
	v_fmac_f64_e32 v[210:211], s[22:23], v[196:197]
	v_mul_f64 v[208:209], v[198:199], s[34:35]
	v_add_f64 v[200:201], v[210:211], v[200:201]
	v_fma_f64 v[210:211], s[30:31], v[4:5], v[208:209]
	v_add_f64 v[210:211], v[210:211], v[230:231]
	v_mul_f64 v[230:231], v[6:7], s[30:31]
	v_add_f64 v[202:203], v[236:237], v[202:203]
	v_fma_f64 v[236:237], s[28:29], v[196:197], v[230:231]
	v_fma_f64 v[208:209], v[4:5], s[30:31], -v[208:209]
	v_fmac_f64_e32 v[230:231], s[34:35], v[196:197]
	v_add_f64 v[204:205], v[208:209], v[204:205]
	v_add_f64 v[208:209], v[230:231], v[232:233]
	v_mul_f64 v[230:231], v[198:199], s[26:27]
	v_fma_f64 v[232:233], s[16:17], v[4:5], v[230:231]
	v_fma_f64 v[230:231], v[4:5], s[16:17], -v[230:231]
	v_mul_f64 v[198:199], v[198:199], s[36:37]
	v_mul_f64 v[238:239], v[6:7], s[16:17]
	v_add_f64 v[230:231], v[230:231], v[242:243]
	v_fma_f64 v[242:243], s[20:21], v[4:5], v[198:199]
	v_mul_f64 v[6:7], v[6:7], s[20:21]
	v_fma_f64 v[4:5], v[4:5], s[20:21], -v[198:199]
	v_add_f64 v[198:199], v[214:215], -v[222:223]
	v_add_f64 v[236:237], v[236:237], v[240:241]
	v_add_f64 v[232:233], v[232:233], v[244:245]
	v_fma_f64 v[240:241], s[8:9], v[196:197], v[238:239]
	v_fmac_f64_e32 v[238:239], s[26:27], v[196:197]
	v_fma_f64 v[244:245], s[18:19], v[196:197], v[6:7]
	v_add_f64 v[0:1], v[4:5], v[0:1]
	v_fmac_f64_e32 v[6:7], s[36:37], v[196:197]
	v_add_f64 v[4:5], v[212:213], v[220:221]
	v_add_f64 v[196:197], v[212:213], -v[220:221]
	v_mul_f64 v[212:213], v[198:199], s[8:9]
	v_add_f64 v[2:3], v[6:7], v[2:3]
	v_add_f64 v[6:7], v[214:215], v[222:223]
	v_fma_f64 v[214:215], s[16:17], v[4:5], v[212:213]
	v_add_f64 v[10:11], v[214:215], v[10:11]
	v_mul_f64 v[214:215], v[6:7], s[16:17]
	v_fma_f64 v[212:213], v[4:5], s[16:17], -v[212:213]
	v_fma_f64 v[220:221], s[26:27], v[196:197], v[214:215]
	v_add_f64 v[8:9], v[212:213], v[8:9]
	v_fmac_f64_e32 v[214:215], s[8:9], v[196:197]
	v_mul_f64 v[212:213], v[198:199], s[34:35]
	v_add_f64 v[12:13], v[214:215], v[12:13]
	v_fma_f64 v[214:215], s[30:31], v[4:5], v[212:213]
	v_add_f64 v[18:19], v[214:215], v[18:19]
	v_mul_f64 v[214:215], v[6:7], s[30:31]
	v_fma_f64 v[212:213], v[4:5], s[30:31], -v[212:213]
	v_add_f64 v[14:15], v[220:221], v[14:15]
	v_fma_f64 v[220:221], s[28:29], v[196:197], v[214:215]
	v_add_f64 v[16:17], v[212:213], v[16:17]
	v_fmac_f64_e32 v[214:215], s[34:35], v[196:197]
	v_mul_f64 v[212:213], v[198:199], s[38:39]
	v_add_f64 v[200:201], v[214:215], v[200:201]
	v_fma_f64 v[214:215], s[14:15], v[4:5], v[212:213]
	v_add_f64 v[210:211], v[214:215], v[210:211]
	v_mul_f64 v[214:215], v[6:7], s[14:15]
	v_fma_f64 v[212:213], v[4:5], s[14:15], -v[212:213]
	v_add_f64 v[202:203], v[220:221], v[202:203]
	v_fma_f64 v[220:221], s[10:11], v[196:197], v[214:215]
	v_add_f64 v[204:205], v[212:213], v[204:205]
	v_fmac_f64_e32 v[214:215], s[38:39], v[196:197]
	v_mul_f64 v[212:213], v[198:199], s[18:19]
	v_mul_f64 v[222:223], v[6:7], s[20:21]
	;; [unrolled: 1-line block ×3, first 2 shown]
	v_add_f64 v[220:221], v[220:221], v[236:237]
	v_add_f64 v[208:209], v[214:215], v[208:209]
	v_fma_f64 v[214:215], s[20:21], v[4:5], v[212:213]
	v_fma_f64 v[212:213], v[4:5], s[20:21], -v[212:213]
	v_mul_f64 v[198:199], v[198:199], s[22:23]
	v_fma_f64 v[236:237], s[2:3], v[196:197], v[6:7]
	v_fmac_f64_e32 v[6:7], s[22:23], v[196:197]
	v_add_f64 v[212:213], v[212:213], v[230:231]
	v_fma_f64 v[230:231], s[24:25], v[4:5], v[198:199]
	v_fma_f64 v[4:5], v[4:5], s[24:25], -v[198:199]
	v_add_f64 v[2:3], v[6:7], v[2:3]
	v_add_f64 v[6:7], v[194:195], v[218:219]
	v_add_f64 v[194:195], v[194:195], -v[218:219]
	v_add_f64 v[214:215], v[214:215], v[232:233]
	v_fma_f64 v[232:233], s[36:37], v[196:197], v[222:223]
	v_fmac_f64_e32 v[222:223], s[18:19], v[196:197]
	v_add_f64 v[0:1], v[4:5], v[0:1]
	v_add_f64 v[4:5], v[192:193], v[216:217]
	v_mul_f64 v[196:197], v[194:195], s[22:23]
	v_fma_f64 v[198:199], s[24:25], v[4:5], v[196:197]
	v_add_f64 v[192:193], v[192:193], -v[216:217]
	v_add_f64 v[10:11], v[198:199], v[10:11]
	v_mul_f64 v[198:199], v[6:7], s[24:25]
	v_fma_f64 v[196:197], v[4:5], s[24:25], -v[196:197]
	v_fma_f64 v[216:217], s[2:3], v[192:193], v[198:199]
	v_add_f64 v[8:9], v[196:197], v[8:9]
	v_fmac_f64_e32 v[198:199], s[22:23], v[192:193]
	v_mul_f64 v[196:197], v[194:195], s[26:27]
	v_add_f64 v[12:13], v[198:199], v[12:13]
	v_fma_f64 v[198:199], s[16:17], v[4:5], v[196:197]
	v_add_f64 v[18:19], v[198:199], v[18:19]
	v_mul_f64 v[198:199], v[6:7], s[16:17]
	v_fma_f64 v[196:197], v[4:5], s[16:17], -v[196:197]
	v_add_f64 v[14:15], v[216:217], v[14:15]
	v_fma_f64 v[216:217], s[8:9], v[192:193], v[198:199]
	v_add_f64 v[16:17], v[196:197], v[16:17]
	v_fmac_f64_e32 v[198:199], s[26:27], v[192:193]
	v_mul_f64 v[196:197], v[194:195], s[18:19]
	v_add_f64 v[200:201], v[198:199], v[200:201]
	v_fma_f64 v[198:199], s[20:21], v[4:5], v[196:197]
	v_add_f64 v[210:211], v[198:199], v[210:211]
	v_mul_f64 v[198:199], v[6:7], s[20:21]
	v_fma_f64 v[196:197], v[4:5], s[20:21], -v[196:197]
	v_add_f64 v[202:203], v[216:217], v[202:203]
	v_fma_f64 v[216:217], s[36:37], v[192:193], v[198:199]
	v_add_f64 v[204:205], v[196:197], v[204:205]
	v_fmac_f64_e32 v[198:199], s[18:19], v[192:193]
	v_mul_f64 v[196:197], v[194:195], s[28:29]
	v_add_f64 v[218:219], v[198:199], v[208:209]
	v_fma_f64 v[198:199], s[30:31], v[4:5], v[196:197]
	v_add_f64 v[240:241], v[240:241], v[248:249]
	v_add_f64 v[214:215], v[198:199], v[214:215]
	v_mul_f64 v[198:199], v[6:7], s[30:31]
	v_add_f64 v[242:243], v[242:243], v[250:251]
	v_add_f64 v[232:233], v[232:233], v[240:241]
	v_fma_f64 v[208:209], s[34:35], v[192:193], v[198:199]
	v_fma_f64 v[196:197], v[4:5], s[30:31], -v[196:197]
	v_mul_f64 v[194:195], v[194:195], s[38:39]
	v_add_f64 v[238:239], v[238:239], v[246:247]
	v_add_f64 v[230:231], v[230:231], v[242:243]
	v_add_f64 v[216:217], v[216:217], v[220:221]
	v_add_f64 v[220:221], v[208:209], v[232:233]
	v_add_f64 v[232:233], v[196:197], v[212:213]
	v_fma_f64 v[196:197], s[14:15], v[4:5], v[194:195]
	v_mul_f64 v[6:7], v[6:7], s[14:15]
	v_fma_f64 v[4:5], v[4:5], s[14:15], -v[194:195]
	v_add_f64 v[240:241], v[182:183], -v[190:191]
	v_add_f64 v[222:223], v[222:223], v[238:239]
	v_add_f64 v[230:231], v[196:197], v[230:231]
	v_fma_f64 v[196:197], s[10:11], v[192:193], v[6:7]
	v_add_f64 v[0:1], v[4:5], v[0:1]
	v_fmac_f64_e32 v[6:7], s[38:39], v[192:193]
	v_add_f64 v[4:5], v[180:181], v[188:189]
	v_add_f64 v[238:239], v[180:181], -v[188:189]
	v_mul_f64 v[180:181], v[240:241], s[28:29]
	v_add_f64 v[2:3], v[6:7], v[2:3]
	v_add_f64 v[6:7], v[182:183], v[190:191]
	v_fma_f64 v[182:183], s[30:31], v[4:5], v[180:181]
	v_add_f64 v[188:189], v[182:183], v[10:11]
	v_mul_f64 v[10:11], v[6:7], s[30:31]
	v_add_f64 v[244:245], v[244:245], v[252:253]
	v_fma_f64 v[182:183], s[34:35], v[238:239], v[10:11]
	v_add_f64 v[236:237], v[236:237], v[244:245]
	v_add_f64 v[190:191], v[182:183], v[14:15]
	v_fma_f64 v[14:15], v[4:5], s[30:31], -v[180:181]
	v_fmac_f64_e32 v[198:199], s[28:29], v[192:193]
	v_add_f64 v[236:237], v[196:197], v[236:237]
	v_add_f64 v[196:197], v[14:15], v[8:9]
	v_fmac_f64_e32 v[10:11], s[28:29], v[238:239]
	v_mul_f64 v[8:9], v[240:241], s[36:37]
	v_add_f64 v[222:223], v[198:199], v[222:223]
	v_add_f64 v[198:199], v[10:11], v[12:13]
	v_fma_f64 v[10:11], s[20:21], v[4:5], v[8:9]
	v_add_f64 v[192:193], v[10:11], v[18:19]
	v_mul_f64 v[10:11], v[6:7], s[20:21]
	v_fma_f64 v[8:9], v[4:5], s[20:21], -v[8:9]
	v_fma_f64 v[12:13], s[18:19], v[238:239], v[10:11]
	v_add_f64 v[180:181], v[8:9], v[16:17]
	v_fmac_f64_e32 v[10:11], s[36:37], v[238:239]
	v_mul_f64 v[8:9], v[240:241], s[22:23]
	v_add_f64 v[182:183], v[10:11], v[200:201]
	v_fma_f64 v[10:11], s[24:25], v[4:5], v[8:9]
	v_add_f64 v[200:201], v[10:11], v[210:211]
	v_mul_f64 v[10:11], v[6:7], s[24:25]
	v_fma_f64 v[8:9], v[4:5], s[24:25], -v[8:9]
	v_add_f64 v[194:195], v[12:13], v[202:203]
	v_fma_f64 v[12:13], s[2:3], v[238:239], v[10:11]
	v_add_f64 v[208:209], v[8:9], v[204:205]
	v_fmac_f64_e32 v[10:11], s[22:23], v[238:239]
	v_mul_f64 v[8:9], v[240:241], s[38:39]
	v_add_f64 v[210:211], v[10:11], v[218:219]
	v_fma_f64 v[10:11], s[14:15], v[4:5], v[8:9]
	v_add_f64 v[212:213], v[10:11], v[214:215]
	v_mul_f64 v[10:11], v[6:7], s[14:15]
	v_fma_f64 v[8:9], v[4:5], s[14:15], -v[8:9]
	v_add_f64 v[202:203], v[12:13], v[216:217]
	v_fma_f64 v[12:13], s[10:11], v[238:239], v[10:11]
	v_add_f64 v[216:217], v[8:9], v[232:233]
	v_fmac_f64_e32 v[10:11], s[38:39], v[238:239]
	v_mul_f64 v[8:9], v[240:241], s[8:9]
	v_add_f64 v[218:219], v[10:11], v[222:223]
	v_fma_f64 v[10:11], s[16:17], v[4:5], v[8:9]
	v_mul_f64 v[6:7], v[6:7], s[16:17]
	v_add_f64 v[214:215], v[12:13], v[220:221]
	v_add_f64 v[220:221], v[10:11], v[230:231]
	v_fma_f64 v[10:11], s[26:27], v[238:239], v[6:7]
	v_add_f64 v[222:223], v[10:11], v[236:237]
	v_fma_f64 v[4:5], v[4:5], s[16:17], -v[8:9]
	v_fmac_f64_e32 v[6:7], s[8:9], v[238:239]
	v_add_f64 v[236:237], v[4:5], v[0:1]
	v_add_f64 v[238:239], v[6:7], v[2:3]
	s_barrier
	ds_write_b128 v206, v[184:187]
	ds_write_b128 v206, v[188:191] offset:16
	ds_write_b128 v206, v[192:195] offset:32
	;; [unrolled: 1-line block ×10, first 2 shown]
	s_waitcnt lgkmcnt(0)
	s_barrier
	ds_read_b128 v[192:195], v224
	ds_read_b128 v[188:191], v224 offset:2640
	ds_read_b128 v[212:215], v224 offset:19360
	;; [unrolled: 1-line block ×8, first 2 shown]
	s_and_saveexec_b64 s[2:3], vcc
	s_cbranch_execz .LBB0_11
; %bb.10:
	ds_read_b128 v[180:183], v224 offset:7920
	ds_read_b128 v[196:199], v224 offset:17600
	;; [unrolled: 1-line block ×3, first 2 shown]
.LBB0_11:
	s_or_b64 exec, exec, s[2:3]
	s_waitcnt lgkmcnt(1)
	v_mul_f64 v[16:17], v[66:67], v[206:207]
	v_mul_f64 v[18:19], v[66:67], v[204:205]
	;; [unrolled: 1-line block ×4, first 2 shown]
	v_fmac_f64_e32 v[16:17], v[64:65], v[204:205]
	v_fma_f64 v[18:19], v[64:65], v[206:207], -v[18:19]
	s_waitcnt lgkmcnt(0)
	v_mul_f64 v[64:65], v[62:63], v[202:203]
	v_mul_f64 v[62:63], v[62:63], v[200:201]
	;; [unrolled: 1-line block ×3, first 2 shown]
	v_fmac_f64_e32 v[12:13], v[76:77], v[208:209]
	v_fma_f64 v[14:15], v[76:77], v[210:211], -v[14:15]
	v_fmac_f64_e32 v[64:65], v[60:61], v[200:201]
	v_fma_f64 v[60:61], v[60:61], v[202:203], -v[62:63]
	v_mul_f64 v[76:77], v[74:75], v[198:199]
	v_mul_f64 v[62:63], v[74:75], v[196:197]
	v_fmac_f64_e32 v[0:1], v[88:89], v[220:221]
	v_mul_f64 v[4:5], v[86:87], v[214:215]
	v_fmac_f64_e32 v[76:77], v[72:73], v[196:197]
	v_fma_f64 v[74:75], v[72:73], v[198:199], -v[62:63]
	v_mul_f64 v[72:73], v[70:71], v[178:179]
	v_mul_f64 v[62:63], v[70:71], v[176:177]
	;; [unrolled: 1-line block ×3, first 2 shown]
	v_fmac_f64_e32 v[4:5], v[84:85], v[212:213]
	v_mul_f64 v[6:7], v[86:87], v[212:213]
	v_fmac_f64_e32 v[72:73], v[68:69], v[176:177]
	v_fma_f64 v[68:69], v[68:69], v[178:179], -v[62:63]
	v_add_f64 v[62:63], v[192:193], v[0:1]
	v_fma_f64 v[2:3], v[88:89], v[222:223], -v[2:3]
	v_fma_f64 v[6:7], v[84:85], v[214:215], -v[6:7]
	v_add_f64 v[78:79], v[62:63], v[4:5]
	v_add_f64 v[62:63], v[0:1], v[4:5]
	s_mov_b32 s2, 0xe8584caa
	v_fmac_f64_e32 v[192:193], -0.5, v[62:63]
	v_add_f64 v[62:63], v[2:3], -v[6:7]
	s_mov_b32 s3, 0xbfebb67a
	s_mov_b32 s9, 0x3febb67a
	;; [unrolled: 1-line block ×3, first 2 shown]
	v_mul_f64 v[8:9], v[82:83], v[218:219]
	v_mul_f64 v[10:11], v[82:83], v[216:217]
	v_fma_f64 v[82:83], s[2:3], v[62:63], v[192:193]
	v_fmac_f64_e32 v[192:193], s[8:9], v[62:63]
	v_add_f64 v[62:63], v[194:195], v[2:3]
	v_add_f64 v[2:3], v[2:3], v[6:7]
	v_fmac_f64_e32 v[8:9], v[80:81], v[216:217]
	v_fmac_f64_e32 v[194:195], -0.5, v[2:3]
	v_add_f64 v[0:1], v[0:1], -v[4:5]
	v_fma_f64 v[84:85], s[8:9], v[0:1], v[194:195]
	v_fmac_f64_e32 v[194:195], s[2:3], v[0:1]
	v_add_f64 v[0:1], v[188:189], v[8:9]
	v_fma_f64 v[10:11], v[80:81], v[218:219], -v[10:11]
	v_add_f64 v[86:87], v[0:1], v[12:13]
	v_add_f64 v[0:1], v[8:9], v[12:13]
	v_fmac_f64_e32 v[188:189], -0.5, v[0:1]
	v_add_f64 v[0:1], v[10:11], -v[14:15]
	v_fma_f64 v[176:177], s[2:3], v[0:1], v[188:189]
	v_fmac_f64_e32 v[188:189], s[8:9], v[0:1]
	v_add_f64 v[0:1], v[190:191], v[10:11]
	v_add_f64 v[88:89], v[0:1], v[14:15]
	v_add_f64 v[0:1], v[10:11], v[14:15]
	v_fmac_f64_e32 v[190:191], -0.5, v[0:1]
	v_add_f64 v[0:1], v[8:9], -v[12:13]
	v_fma_f64 v[178:179], s[8:9], v[0:1], v[190:191]
	v_fmac_f64_e32 v[190:191], s[2:3], v[0:1]
	v_add_f64 v[0:1], v[184:185], v[16:17]
	;; [unrolled: 7-line block ×4, first 2 shown]
	v_fma_f64 v[64:65], -0.5, v[0:1], v[180:181]
	v_add_f64 v[0:1], v[74:75], -v[68:69]
	v_fma_f64 v[60:61], s[2:3], v[0:1], v[64:65]
	v_fmac_f64_e32 v[64:65], s[8:9], v[0:1]
	v_add_f64 v[0:1], v[74:75], v[68:69]
	v_fma_f64 v[66:67], -0.5, v[0:1], v[182:183]
	v_add_f64 v[0:1], v[76:77], -v[72:73]
	v_add_f64 v[80:81], v[62:63], v[6:7]
	v_fma_f64 v[62:63], s[8:9], v[0:1], v[66:67]
	v_fmac_f64_e32 v[66:67], s[2:3], v[0:1]
	v_accvgpr_read_b32 v0, a22
	s_barrier
	ds_write_b128 v0, v[78:81]
	ds_write_b128 v0, v[82:85] offset:176
	ds_write_b128 v0, v[192:195] offset:352
	ds_write_b128 v229, v[86:89]
	ds_write_b128 v229, v[176:179] offset:176
	ds_write_b128 v229, v[188:191] offset:352
	;; [unrolled: 3-line block ×3, first 2 shown]
	s_and_saveexec_b64 s[2:3], vcc
	s_cbranch_execz .LBB0_13
; %bb.12:
	v_add_f64 v[0:1], v[182:183], v[74:75]
	v_add_f64 v[70:71], v[0:1], v[68:69]
	;; [unrolled: 1-line block ×4, first 2 shown]
	v_accvgpr_read_b32 v0, a20
	v_accvgpr_read_b32 v1, a21
	v_mad_legacy_u16 v0, v0, 33, v1
	v_lshlrev_b32_e32 v0, 4, v0
	ds_write_b128 v0, v[68:71]
	ds_write_b128 v0, v[60:63] offset:176
	ds_write_b128 v0, v[64:67] offset:352
.LBB0_13:
	s_or_b64 exec, exec, s[2:3]
	s_waitcnt lgkmcnt(0)
	s_barrier
	ds_read_b128 v[72:75], v224
	ds_read_b128 v[68:71], v224 offset:2640
	ds_read_b128 v[188:191], v224 offset:5808
	;; [unrolled: 1-line block ×9, first 2 shown]
	s_and_saveexec_b64 s[2:3], s[0:1]
	s_cbranch_execz .LBB0_15
; %bb.14:
	ds_read_b128 v[60:63], v224 offset:5280
	ds_read_b128 v[64:67], v224 offset:11088
	;; [unrolled: 1-line block ×5, first 2 shown]
.LBB0_15:
	s_or_b64 exec, exec, s[2:3]
	s_waitcnt lgkmcnt(7)
	v_mul_f64 v[0:1], v[106:107], v[190:191]
	v_mul_f64 v[2:3], v[106:107], v[188:189]
	s_waitcnt lgkmcnt(5)
	v_mul_f64 v[4:5], v[102:103], v[186:187]
	v_mul_f64 v[6:7], v[102:103], v[184:185]
	;; [unrolled: 3-line block ×3, first 2 shown]
	s_waitcnt lgkmcnt(0)
	v_mul_f64 v[102:103], v[110:111], v[78:79]
	v_fmac_f64_e32 v[4:5], v[100:101], v[184:185]
	v_fmac_f64_e32 v[8:9], v[96:97], v[180:181]
	v_mul_f64 v[14:15], v[94:95], v[176:177]
	v_fmac_f64_e32 v[106:107], v[116:117], v[84:85]
	v_mul_f64 v[84:85], v[118:119], v[84:85]
	v_mul_f64 v[118:119], v[114:115], v[82:83]
	v_fmac_f64_e32 v[102:103], v[108:109], v[76:77]
	v_mul_f64 v[76:77], v[110:111], v[76:77]
	v_fma_f64 v[2:3], v[104:105], v[190:191], -v[2:3]
	v_mul_f64 v[10:11], v[98:99], v[180:181]
	v_mul_f64 v[12:13], v[94:95], v[178:179]
	v_fma_f64 v[14:15], v[92:93], v[178:179], -v[14:15]
	v_fmac_f64_e32 v[118:119], v[112:113], v[80:81]
	v_mul_f64 v[80:81], v[114:115], v[80:81]
	v_fma_f64 v[108:109], v[108:109], v[78:79], -v[76:77]
	v_add_f64 v[78:79], v[4:5], v[8:9]
	s_mov_b32 s2, 0x134454ff
	v_fmac_f64_e32 v[0:1], v[104:105], v[188:189]
	v_fma_f64 v[6:7], v[100:101], v[186:187], -v[6:7]
	v_fma_f64 v[10:11], v[96:97], v[182:183], -v[10:11]
	v_fmac_f64_e32 v[12:13], v[92:93], v[176:177]
	v_mul_f64 v[16:17], v[122:123], v[90:91]
	v_fma_f64 v[112:113], v[112:113], v[82:83], -v[80:81]
	v_fma_f64 v[80:81], -0.5, v[78:79], v[72:73]
	v_add_f64 v[78:79], v[2:3], -v[14:15]
	s_mov_b32 s3, 0xbfee6f0e
	s_mov_b32 s8, 0x4755a5e
	;; [unrolled: 1-line block ×4, first 2 shown]
	v_fmac_f64_e32 v[16:17], v[120:121], v[88:89]
	v_mul_f64 v[18:19], v[122:123], v[88:89]
	v_fma_f64 v[116:117], v[116:117], v[86:87], -v[84:85]
	v_fma_f64 v[84:85], s[2:3], v[78:79], v[80:81]
	v_add_f64 v[82:83], v[6:7], -v[10:11]
	s_mov_b32 s9, 0xbfe2cf23
	v_add_f64 v[86:87], v[0:1], -v[4:5]
	v_add_f64 v[88:89], v[12:13], -v[8:9]
	s_mov_b32 s10, 0x372fe950
	v_fmac_f64_e32 v[80:81], s[14:15], v[78:79]
	s_mov_b32 s17, 0x3fe2cf23
	s_mov_b32 s16, s8
	v_fmac_f64_e32 v[84:85], s[8:9], v[82:83]
	v_add_f64 v[86:87], v[86:87], v[88:89]
	s_mov_b32 s11, 0x3fd3c6ef
	v_fmac_f64_e32 v[80:81], s[16:17], v[82:83]
	v_fmac_f64_e32 v[84:85], s[10:11], v[86:87]
	v_fmac_f64_e32 v[80:81], s[10:11], v[86:87]
	v_add_f64 v[86:87], v[0:1], v[12:13]
	v_add_f64 v[76:77], v[72:73], v[0:1]
	v_fmac_f64_e32 v[72:73], -0.5, v[86:87]
	v_fma_f64 v[18:19], v[120:121], v[90:91], -v[18:19]
	v_add_f64 v[76:77], v[76:77], v[4:5]
	v_fma_f64 v[88:89], s[14:15], v[82:83], v[72:73]
	v_add_f64 v[86:87], v[4:5], -v[0:1]
	v_add_f64 v[90:91], v[8:9], -v[12:13]
	v_fmac_f64_e32 v[72:73], s[2:3], v[82:83]
	v_add_f64 v[82:83], v[6:7], v[10:11]
	v_add_f64 v[76:77], v[76:77], v[8:9]
	v_fmac_f64_e32 v[88:89], s[8:9], v[78:79]
	v_add_f64 v[86:87], v[86:87], v[90:91]
	v_fmac_f64_e32 v[72:73], s[16:17], v[78:79]
	v_fma_f64 v[82:83], -0.5, v[82:83], v[74:75]
	v_add_f64 v[0:1], v[0:1], -v[12:13]
	v_add_f64 v[76:77], v[76:77], v[12:13]
	v_fmac_f64_e32 v[88:89], s[10:11], v[86:87]
	v_fmac_f64_e32 v[72:73], s[10:11], v[86:87]
	v_fma_f64 v[86:87], s[14:15], v[0:1], v[82:83]
	v_add_f64 v[4:5], v[4:5], -v[8:9]
	v_add_f64 v[8:9], v[2:3], -v[6:7]
	;; [unrolled: 1-line block ×3, first 2 shown]
	v_fmac_f64_e32 v[82:83], s[2:3], v[0:1]
	v_fmac_f64_e32 v[86:87], s[16:17], v[4:5]
	v_add_f64 v[8:9], v[8:9], v[12:13]
	v_fmac_f64_e32 v[82:83], s[8:9], v[4:5]
	v_fmac_f64_e32 v[86:87], s[10:11], v[8:9]
	;; [unrolled: 1-line block ×3, first 2 shown]
	v_add_f64 v[8:9], v[2:3], v[14:15]
	v_add_f64 v[78:79], v[74:75], v[2:3]
	v_fmac_f64_e32 v[74:75], -0.5, v[8:9]
	v_fma_f64 v[90:91], s[2:3], v[4:5], v[74:75]
	v_fmac_f64_e32 v[74:75], s[14:15], v[4:5]
	v_fmac_f64_e32 v[90:91], s[16:17], v[0:1]
	;; [unrolled: 1-line block ×3, first 2 shown]
	v_add_f64 v[0:1], v[68:69], v[16:17]
	v_add_f64 v[0:1], v[0:1], v[106:107]
	;; [unrolled: 1-line block ×4, first 2 shown]
	v_add_f64 v[2:3], v[6:7], -v[2:3]
	v_add_f64 v[6:7], v[10:11], -v[14:15]
	v_add_f64 v[92:93], v[0:1], v[102:103]
	v_add_f64 v[0:1], v[106:107], v[118:119]
	;; [unrolled: 1-line block ×3, first 2 shown]
	v_fma_f64 v[96:97], -0.5, v[0:1], v[68:69]
	v_add_f64 v[0:1], v[18:19], -v[108:109]
	v_fmac_f64_e32 v[90:91], s[10:11], v[2:3]
	v_fmac_f64_e32 v[74:75], s[10:11], v[2:3]
	v_fma_f64 v[100:101], s[2:3], v[0:1], v[96:97]
	v_add_f64 v[2:3], v[116:117], -v[112:113]
	v_add_f64 v[4:5], v[16:17], -v[106:107]
	;; [unrolled: 1-line block ×3, first 2 shown]
	v_fmac_f64_e32 v[96:97], s[14:15], v[0:1]
	v_fmac_f64_e32 v[100:101], s[8:9], v[2:3]
	v_add_f64 v[4:5], v[4:5], v[6:7]
	v_fmac_f64_e32 v[96:97], s[16:17], v[2:3]
	v_fmac_f64_e32 v[100:101], s[10:11], v[4:5]
	;; [unrolled: 1-line block ×3, first 2 shown]
	v_add_f64 v[4:5], v[16:17], v[102:103]
	v_fmac_f64_e32 v[68:69], -0.5, v[4:5]
	v_fma_f64 v[104:105], s[14:15], v[2:3], v[68:69]
	v_fmac_f64_e32 v[68:69], s[2:3], v[2:3]
	v_fmac_f64_e32 v[104:105], s[8:9], v[0:1]
	;; [unrolled: 1-line block ×3, first 2 shown]
	v_add_f64 v[0:1], v[70:71], v[18:19]
	v_add_f64 v[0:1], v[0:1], v[116:117]
	;; [unrolled: 1-line block ×3, first 2 shown]
	v_add_f64 v[4:5], v[106:107], -v[16:17]
	v_add_f64 v[6:7], v[118:119], -v[102:103]
	v_add_f64 v[94:95], v[0:1], v[108:109]
	v_add_f64 v[0:1], v[116:117], v[112:113]
	;; [unrolled: 1-line block ×3, first 2 shown]
	v_fma_f64 v[98:99], -0.5, v[0:1], v[70:71]
	v_add_f64 v[0:1], v[16:17], -v[102:103]
	v_fmac_f64_e32 v[104:105], s[10:11], v[4:5]
	v_fmac_f64_e32 v[68:69], s[10:11], v[4:5]
	v_fma_f64 v[102:103], s[14:15], v[0:1], v[98:99]
	v_add_f64 v[2:3], v[106:107], -v[118:119]
	v_add_f64 v[4:5], v[18:19], -v[116:117]
	;; [unrolled: 1-line block ×3, first 2 shown]
	v_fmac_f64_e32 v[98:99], s[2:3], v[0:1]
	v_fmac_f64_e32 v[102:103], s[16:17], v[2:3]
	v_add_f64 v[4:5], v[4:5], v[6:7]
	v_fmac_f64_e32 v[98:99], s[8:9], v[2:3]
	v_fmac_f64_e32 v[102:103], s[10:11], v[4:5]
	;; [unrolled: 1-line block ×3, first 2 shown]
	v_add_f64 v[4:5], v[18:19], v[108:109]
	v_fmac_f64_e32 v[70:71], -0.5, v[4:5]
	v_add_f64 v[78:79], v[78:79], v[10:11]
	v_fma_f64 v[106:107], s[2:3], v[2:3], v[70:71]
	v_add_f64 v[4:5], v[116:117], -v[18:19]
	v_add_f64 v[6:7], v[112:113], -v[108:109]
	v_fmac_f64_e32 v[70:71], s[14:15], v[2:3]
	v_add_f64 v[78:79], v[78:79], v[14:15]
	v_fmac_f64_e32 v[106:107], s[16:17], v[0:1]
	v_add_f64 v[4:5], v[4:5], v[6:7]
	v_fmac_f64_e32 v[70:71], s[8:9], v[0:1]
	v_fmac_f64_e32 v[106:107], s[10:11], v[4:5]
	;; [unrolled: 1-line block ×3, first 2 shown]
	s_barrier
	ds_write_b128 v234, v[76:79]
	ds_write_b128 v234, v[84:87] offset:528
	ds_write_b128 v234, v[88:91] offset:1056
	;; [unrolled: 1-line block ×4, first 2 shown]
	ds_write_b128 v235, v[92:95]
	ds_write_b128 v235, v[100:103] offset:528
	ds_write_b128 v235, v[104:107] offset:1056
	;; [unrolled: 1-line block ×4, first 2 shown]
	s_and_saveexec_b64 s[18:19], s[0:1]
	s_cbranch_execz .LBB0_17
; %bb.16:
	v_mul_f64 v[0:1], v[58:59], v[128:129]
	v_mul_f64 v[2:3], v[50:51], v[64:65]
	;; [unrolled: 1-line block ×4, first 2 shown]
	v_fma_f64 v[0:1], v[56:57], v[130:131], -v[0:1]
	v_fma_f64 v[2:3], v[48:49], v[66:67], -v[2:3]
	v_fma_f64 v[6:7], v[52:53], v[134:135], -v[6:7]
	v_fma_f64 v[8:9], v[44:45], v[126:127], -v[8:9]
	v_add_f64 v[4:5], v[0:1], -v[2:3]
	v_add_f64 v[10:11], v[6:7], -v[8:9]
	v_add_f64 v[4:5], v[4:5], v[10:11]
	v_mul_f64 v[10:11], v[58:59], v[130:131]
	v_mul_f64 v[12:13], v[54:55], v[134:135]
	v_add_f64 v[16:17], v[2:3], v[8:9]
	v_fmac_f64_e32 v[10:11], v[56:57], v[128:129]
	v_fmac_f64_e32 v[12:13], v[52:53], v[132:133]
	v_fma_f64 v[52:53], -0.5, v[16:17], v[62:63]
	v_mul_f64 v[16:17], v[50:51], v[66:67]
	v_mul_f64 v[18:19], v[46:47], v[126:127]
	v_add_f64 v[14:15], v[10:11], -v[12:13]
	v_fmac_f64_e32 v[16:17], v[48:49], v[64:65]
	v_fmac_f64_e32 v[18:19], v[44:45], v[124:125]
	v_fma_f64 v[56:57], s[14:15], v[14:15], v[52:53]
	v_add_f64 v[44:45], v[16:17], -v[18:19]
	v_fmac_f64_e32 v[52:53], s[2:3], v[14:15]
	v_fmac_f64_e32 v[56:57], s[8:9], v[44:45]
	;; [unrolled: 1-line block ×5, first 2 shown]
	v_add_f64 v[4:5], v[2:3], -v[0:1]
	v_add_f64 v[46:47], v[8:9], -v[6:7]
	v_add_f64 v[4:5], v[4:5], v[46:47]
	v_add_f64 v[46:47], v[0:1], v[6:7]
	v_fma_f64 v[46:47], -0.5, v[46:47], v[62:63]
	v_fma_f64 v[64:65], s[2:3], v[44:45], v[46:47]
	v_fmac_f64_e32 v[46:47], s[14:15], v[44:45]
	v_fmac_f64_e32 v[64:65], s[8:9], v[14:15]
	;; [unrolled: 1-line block ×5, first 2 shown]
	v_add_f64 v[4:5], v[62:63], v[2:3]
	v_add_f64 v[4:5], v[4:5], v[0:1]
	v_add_f64 v[4:5], v[4:5], v[6:7]
	v_add_f64 v[68:69], v[4:5], v[8:9]
	v_add_f64 v[2:3], v[2:3], -v[8:9]
	v_add_f64 v[8:9], v[16:17], v[18:19]
	v_fma_f64 v[50:51], -0.5, v[8:9], v[60:61]
	v_add_f64 v[0:1], v[0:1], -v[6:7]
	v_add_f64 v[4:5], v[10:11], -v[16:17]
	;; [unrolled: 1-line block ×3, first 2 shown]
	v_fma_f64 v[54:55], s[2:3], v[0:1], v[50:51]
	v_fmac_f64_e32 v[50:51], s[14:15], v[0:1]
	v_add_f64 v[4:5], v[4:5], v[14:15]
	v_fmac_f64_e32 v[54:55], s[16:17], v[2:3]
	v_fmac_f64_e32 v[50:51], s[8:9], v[2:3]
	;; [unrolled: 1-line block ×4, first 2 shown]
	v_add_f64 v[4:5], v[16:17], -v[10:11]
	v_add_f64 v[6:7], v[18:19], -v[12:13]
	v_add_f64 v[4:5], v[4:5], v[6:7]
	v_add_f64 v[6:7], v[10:11], v[12:13]
	v_fma_f64 v[44:45], -0.5, v[6:7], v[60:61]
	v_fma_f64 v[62:63], s[14:15], v[2:3], v[44:45]
	v_fmac_f64_e32 v[44:45], s[2:3], v[2:3]
	v_fmac_f64_e32 v[62:63], s[16:17], v[0:1]
	;; [unrolled: 1-line block ×3, first 2 shown]
	v_add_f64 v[0:1], v[60:61], v[16:17]
	v_add_f64 v[0:1], v[0:1], v[10:11]
	;; [unrolled: 1-line block ×4, first 2 shown]
	v_accvgpr_read_b32 v0, a23
	v_fmac_f64_e32 v[62:63], s[10:11], v[4:5]
	v_fmac_f64_e32 v[44:45], s[10:11], v[4:5]
	ds_write_b128 v0, v[66:69] offset:26400
	ds_write_b128 v0, v[44:47] offset:26928
	;; [unrolled: 1-line block ×5, first 2 shown]
.LBB0_17:
	s_or_b64 exec, exec, s[18:19]
	s_waitcnt lgkmcnt(0)
	s_barrier
	ds_read_b128 v[48:51], v224
	ds_read_b128 v[44:47], v224 offset:2640
	ds_read_b128 v[58:61], v224 offset:5280
	;; [unrolled: 1-line block ×10, first 2 shown]
	s_waitcnt lgkmcnt(9)
	v_mul_f64 v[0:1], v[150:151], v[46:47]
	s_waitcnt lgkmcnt(7)
	v_mul_f64 v[8:9], v[142:143], v[64:65]
	;; [unrolled: 2-line block ×3, first 2 shown]
	v_mul_f64 v[12:13], v[138:139], v[68:69]
	v_fmac_f64_e32 v[0:1], v[148:149], v[44:45]
	v_mul_f64 v[2:3], v[150:151], v[44:45]
	v_mul_f64 v[4:5], v[146:147], v[60:61]
	;; [unrolled: 1-line block ×3, first 2 shown]
	v_fmac_f64_e32 v[8:9], v[140:141], v[62:63]
	v_mul_f64 v[10:11], v[142:143], v[62:63]
	v_fmac_f64_e32 v[66:67], v[136:137], v[68:69]
	v_fma_f64 v[68:69], v[136:137], v[70:71], -v[12:13]
	s_waitcnt lgkmcnt(5)
	v_mul_f64 v[12:13], v[166:167], v[72:73]
	s_waitcnt lgkmcnt(4)
	v_mul_f64 v[62:63], v[162:163], v[78:79]
	;; [unrolled: 2-line block ×3, first 2 shown]
	v_fma_f64 v[2:3], v[148:149], v[46:47], -v[2:3]
	v_fmac_f64_e32 v[4:5], v[144:145], v[58:59]
	v_fma_f64 v[6:7], v[144:145], v[60:61], -v[6:7]
	v_fma_f64 v[60:61], v[164:165], v[74:75], -v[12:13]
	v_fmac_f64_e32 v[62:63], v[160:161], v[76:77]
	v_mul_f64 v[12:13], v[162:163], v[76:77]
	v_fma_f64 v[76:77], v[168:169], v[94:95], -v[44:45]
	v_add_f64 v[44:45], v[48:49], v[0:1]
	v_add_f64 v[46:47], v[50:51], v[2:3]
	;; [unrolled: 1-line block ×3, first 2 shown]
	v_fma_f64 v[10:11], v[140:141], v[64:65], -v[10:11]
	v_mul_f64 v[58:59], v[166:167], v[74:75]
	v_add_f64 v[46:47], v[46:47], v[6:7]
	v_add_f64 v[44:45], v[44:45], v[8:9]
	v_fmac_f64_e32 v[58:59], v[164:165], v[72:73]
	v_add_f64 v[46:47], v[46:47], v[10:11]
	v_add_f64 v[44:45], v[44:45], v[66:67]
	v_fma_f64 v[64:65], v[160:161], v[78:79], -v[12:13]
	v_mul_f64 v[70:71], v[158:159], v[82:83]
	v_mul_f64 v[12:13], v[158:159], v[80:81]
	v_add_f64 v[46:47], v[46:47], v[68:69]
	v_add_f64 v[44:45], v[44:45], v[58:59]
	v_fmac_f64_e32 v[70:71], v[156:157], v[80:81]
	v_fma_f64 v[72:73], v[156:157], v[82:83], -v[12:13]
	v_mul_f64 v[12:13], v[154:155], v[86:87]
	v_add_f64 v[46:47], v[46:47], v[60:61]
	v_add_f64 v[44:45], v[44:45], v[62:63]
	v_mov_b32_e32 v52, s12
	v_mov_b32_e32 v53, s13
	v_mad_u64_u32 v[54:55], s[0:1], s6, v228, 0
	v_fmac_f64_e32 v[12:13], v[152:153], v[84:85]
	v_mul_f64 v[14:15], v[154:155], v[84:85]
	v_mul_f64 v[16:17], v[174:175], v[90:91]
	;; [unrolled: 1-line block ×3, first 2 shown]
	v_add_f64 v[46:47], v[46:47], v[64:65]
	v_add_f64 v[44:45], v[44:45], v[70:71]
	s_mov_b32 s16, 0x8764f0ba
	s_mov_b32 s8, 0xd9c712b6
	;; [unrolled: 1-line block ×3, first 2 shown]
	v_fma_f64 v[14:15], v[152:153], v[86:87], -v[14:15]
	v_fmac_f64_e32 v[16:17], v[172:173], v[88:89]
	v_mul_f64 v[18:19], v[174:175], v[88:89]
	v_fmac_f64_e32 v[74:75], v[168:169], v[92:93]
	v_add_f64 v[46:47], v[46:47], v[72:73]
	v_add_f64 v[44:45], v[44:45], v[12:13]
	;; [unrolled: 1-line block ×3, first 2 shown]
	s_mov_b32 s14, 0xf8bb580b
	s_mov_b32 s17, 0x3feaeb8c
	;; [unrolled: 1-line block ×6, first 2 shown]
	v_fma_f64 v[18:19], v[172:173], v[90:91], -v[18:19]
	v_add_f64 v[46:47], v[46:47], v[14:15]
	v_add_f64 v[44:45], v[44:45], v[16:17]
	;; [unrolled: 1-line block ×3, first 2 shown]
	v_add_f64 v[0:1], v[0:1], -v[74:75]
	v_add_f64 v[2:3], v[2:3], -v[76:77]
	s_mov_b32 s15, 0xbfe14ced
	v_mul_f64 v[82:83], v[80:81], s[16:17]
	s_mov_b32 s19, 0x3fe14ced
	s_mov_b32 s18, s14
	s_mov_b32 s3, 0xbfed1bb4
	v_mul_f64 v[90:91], v[80:81], s[8:9]
	s_mov_b32 s11, 0x3fed1bb4
	s_mov_b32 s10, s2
	;; [unrolled: 4-line block ×3, first 2 shown]
	v_mul_f64 v[106:107], v[80:81], s[24:25]
	s_mov_b32 s27, 0x3fe82f19
	s_mov_b32 s26, s22
	v_mul_f64 v[80:81], v[80:81], s[30:31]
	s_mov_b32 s34, s28
	v_add_f64 v[46:47], v[46:47], v[18:19]
	v_add_f64 v[44:45], v[44:45], v[74:75]
	v_mul_f64 v[74:75], v[2:3], s[14:15]
	v_fma_f64 v[84:85], s[18:19], v[0:1], v[82:83]
	v_fmac_f64_e32 v[82:83], s[14:15], v[0:1]
	v_mul_f64 v[86:87], v[2:3], s[2:3]
	v_fma_f64 v[92:93], s[10:11], v[0:1], v[90:91]
	v_fmac_f64_e32 v[90:91], s[2:3], v[0:1]
	;; [unrolled: 3-line block ×5, first 2 shown]
	v_add_f64 v[46:47], v[46:47], v[76:77]
	v_fma_f64 v[76:77], s[16:17], v[78:79], v[74:75]
	v_add_f64 v[84:85], v[50:51], v[84:85]
	v_fma_f64 v[74:75], v[78:79], s[16:17], -v[74:75]
	v_add_f64 v[82:83], v[50:51], v[82:83]
	v_fma_f64 v[88:89], s[8:9], v[78:79], v[86:87]
	v_add_f64 v[92:93], v[50:51], v[92:93]
	v_fma_f64 v[86:87], v[78:79], s[8:9], -v[86:87]
	;; [unrolled: 4-line block ×5, first 2 shown]
	v_add_f64 v[0:1], v[50:51], v[80:81]
	v_add_f64 v[50:51], v[6:7], v[18:19]
	v_add_f64 v[6:7], v[6:7], -v[18:19]
	v_add_f64 v[76:77], v[48:49], v[76:77]
	v_add_f64 v[74:75], v[48:49], v[74:75]
	;; [unrolled: 1-line block ×11, first 2 shown]
	v_add_f64 v[4:5], v[4:5], -v[16:17]
	v_mul_f64 v[16:17], v[6:7], s[2:3]
	v_fma_f64 v[18:19], s[8:9], v[48:49], v[16:17]
	v_add_f64 v[18:19], v[18:19], v[76:77]
	v_mul_f64 v[76:77], v[50:51], s[8:9]
	v_fma_f64 v[78:79], s[10:11], v[4:5], v[76:77]
	v_fma_f64 v[16:17], v[48:49], s[8:9], -v[16:17]
	v_fmac_f64_e32 v[76:77], s[2:3], v[4:5]
	v_add_f64 v[16:17], v[16:17], v[74:75]
	v_add_f64 v[74:75], v[76:77], v[82:83]
	v_mul_f64 v[76:77], v[6:7], s[22:23]
	v_fma_f64 v[80:81], s[24:25], v[48:49], v[76:77]
	v_fma_f64 v[76:77], v[48:49], s[24:25], -v[76:77]
	v_add_f64 v[76:77], v[76:77], v[86:87]
	v_mul_f64 v[86:87], v[6:7], s[34:35]
	v_add_f64 v[80:81], v[80:81], v[88:89]
	v_mul_f64 v[82:83], v[50:51], s[24:25]
	v_fma_f64 v[88:89], s[30:31], v[48:49], v[86:87]
	v_fma_f64 v[86:87], v[48:49], s[30:31], -v[86:87]
	v_add_f64 v[78:79], v[78:79], v[84:85]
	v_fma_f64 v[84:85], s[26:27], v[4:5], v[82:83]
	v_fmac_f64_e32 v[82:83], s[22:23], v[4:5]
	v_add_f64 v[86:87], v[86:87], v[94:95]
	v_mul_f64 v[94:95], v[6:7], s[20:21]
	v_add_f64 v[82:83], v[82:83], v[90:91]
	v_add_f64 v[88:89], v[88:89], v[96:97]
	v_mul_f64 v[90:91], v[50:51], s[30:31]
	v_fma_f64 v[96:97], s[12:13], v[48:49], v[94:95]
	v_fma_f64 v[94:95], v[48:49], s[12:13], -v[94:95]
	v_mul_f64 v[6:7], v[6:7], s[18:19]
	v_add_f64 v[84:85], v[84:85], v[92:93]
	v_fma_f64 v[92:93], s[28:29], v[4:5], v[90:91]
	v_fmac_f64_e32 v[90:91], s[34:35], v[4:5]
	v_add_f64 v[94:95], v[94:95], v[102:103]
	v_fma_f64 v[102:103], s[16:17], v[48:49], v[6:7]
	v_fma_f64 v[6:7], v[48:49], s[16:17], -v[6:7]
	v_add_f64 v[90:91], v[90:91], v[98:99]
	v_mul_f64 v[98:99], v[50:51], s[12:13]
	v_mul_f64 v[50:51], v[50:51], s[16:17]
	v_add_f64 v[2:3], v[6:7], v[2:3]
	v_add_f64 v[6:7], v[10:11], v[14:15]
	v_add_f64 v[10:11], v[10:11], -v[14:15]
	v_add_f64 v[92:93], v[92:93], v[100:101]
	v_add_f64 v[96:97], v[96:97], v[104:105]
	v_fma_f64 v[100:101], s[0:1], v[4:5], v[98:99]
	v_fmac_f64_e32 v[98:99], s[20:21], v[4:5]
	v_fma_f64 v[104:105], s[14:15], v[4:5], v[50:51]
	v_fmac_f64_e32 v[50:51], s[18:19], v[4:5]
	v_add_f64 v[4:5], v[8:9], v[12:13]
	v_add_f64 v[8:9], v[8:9], -v[12:13]
	v_mul_f64 v[12:13], v[10:11], s[0:1]
	v_fma_f64 v[14:15], s[12:13], v[4:5], v[12:13]
	v_add_f64 v[14:15], v[14:15], v[18:19]
	v_mul_f64 v[18:19], v[6:7], s[12:13]
	v_fma_f64 v[48:49], s[20:21], v[8:9], v[18:19]
	v_fma_f64 v[12:13], v[4:5], s[12:13], -v[12:13]
	v_fmac_f64_e32 v[18:19], s[0:1], v[8:9]
	v_add_f64 v[12:13], v[12:13], v[16:17]
	v_add_f64 v[16:17], v[18:19], v[74:75]
	v_mul_f64 v[18:19], v[10:11], s[34:35]
	v_add_f64 v[0:1], v[50:51], v[0:1]
	v_fma_f64 v[50:51], s[30:31], v[4:5], v[18:19]
	v_fma_f64 v[18:19], v[4:5], s[30:31], -v[18:19]
	v_mul_f64 v[74:75], v[6:7], s[30:31]
	v_add_f64 v[18:19], v[18:19], v[76:77]
	v_mul_f64 v[76:77], v[10:11], s[10:11]
	v_add_f64 v[48:49], v[48:49], v[78:79]
	v_add_f64 v[50:51], v[50:51], v[80:81]
	v_fma_f64 v[78:79], s[28:29], v[8:9], v[74:75]
	v_fmac_f64_e32 v[74:75], s[34:35], v[8:9]
	v_fma_f64 v[80:81], s[8:9], v[4:5], v[76:77]
	v_fma_f64 v[76:77], v[4:5], s[8:9], -v[76:77]
	v_add_f64 v[74:75], v[74:75], v[82:83]
	v_mul_f64 v[82:83], v[6:7], s[8:9]
	v_add_f64 v[76:77], v[76:77], v[86:87]
	v_mul_f64 v[86:87], v[10:11], s[14:15]
	v_add_f64 v[78:79], v[78:79], v[84:85]
	v_add_f64 v[80:81], v[80:81], v[88:89]
	v_fma_f64 v[84:85], s[2:3], v[8:9], v[82:83]
	v_fmac_f64_e32 v[82:83], s[10:11], v[8:9]
	v_fma_f64 v[88:89], s[16:17], v[4:5], v[86:87]
	v_fma_f64 v[86:87], v[4:5], s[16:17], -v[86:87]
	v_mul_f64 v[10:11], v[10:11], s[22:23]
	v_add_f64 v[82:83], v[82:83], v[90:91]
	v_mul_f64 v[90:91], v[6:7], s[16:17]
	v_add_f64 v[86:87], v[86:87], v[94:95]
	v_fma_f64 v[94:95], s[24:25], v[4:5], v[10:11]
	v_mul_f64 v[6:7], v[6:7], s[24:25]
	v_fma_f64 v[4:5], v[4:5], s[24:25], -v[10:11]
	v_add_f64 v[10:11], v[68:69], -v[72:73]
	v_add_f64 v[84:85], v[84:85], v[92:93]
	v_add_f64 v[88:89], v[88:89], v[96:97]
	v_fma_f64 v[92:93], s[18:19], v[8:9], v[90:91]
	v_fmac_f64_e32 v[90:91], s[14:15], v[8:9]
	v_fma_f64 v[96:97], s[26:27], v[8:9], v[6:7]
	v_add_f64 v[2:3], v[4:5], v[2:3]
	v_fmac_f64_e32 v[6:7], s[22:23], v[8:9]
	v_add_f64 v[4:5], v[66:67], v[70:71]
	v_add_f64 v[8:9], v[66:67], -v[70:71]
	v_mul_f64 v[66:67], v[10:11], s[22:23]
	v_add_f64 v[0:1], v[6:7], v[0:1]
	v_add_f64 v[6:7], v[68:69], v[72:73]
	v_fma_f64 v[68:69], s[24:25], v[4:5], v[66:67]
	v_add_f64 v[14:15], v[68:69], v[14:15]
	v_mul_f64 v[68:69], v[6:7], s[24:25]
	v_fma_f64 v[70:71], s[26:27], v[8:9], v[68:69]
	v_add_f64 v[70:71], v[70:71], v[48:49]
	v_fma_f64 v[48:49], v[4:5], s[24:25], -v[66:67]
	v_add_f64 v[12:13], v[48:49], v[12:13]
	v_mul_f64 v[48:49], v[10:11], s[20:21]
	v_fma_f64 v[66:67], s[12:13], v[4:5], v[48:49]
	v_fmac_f64_e32 v[68:69], s[22:23], v[8:9]
	v_add_f64 v[66:67], v[66:67], v[50:51]
	v_mul_f64 v[50:51], v[6:7], s[12:13]
	v_fma_f64 v[48:49], v[4:5], s[12:13], -v[48:49]
	v_add_f64 v[16:17], v[68:69], v[16:17]
	v_fma_f64 v[68:69], s[0:1], v[8:9], v[50:51]
	v_add_f64 v[18:19], v[48:49], v[18:19]
	v_fmac_f64_e32 v[50:51], s[20:21], v[8:9]
	v_mul_f64 v[48:49], v[10:11], s[14:15]
	v_add_f64 v[72:73], v[50:51], v[74:75]
	v_fma_f64 v[50:51], s[16:17], v[4:5], v[48:49]
	v_add_f64 v[74:75], v[50:51], v[80:81]
	v_mul_f64 v[50:51], v[6:7], s[16:17]
	v_fma_f64 v[48:49], v[4:5], s[16:17], -v[48:49]
	v_add_f64 v[68:69], v[68:69], v[78:79]
	v_fma_f64 v[78:79], s[18:19], v[8:9], v[50:51]
	v_add_f64 v[76:77], v[48:49], v[76:77]
	v_fmac_f64_e32 v[50:51], s[14:15], v[8:9]
	v_mul_f64 v[48:49], v[10:11], s[28:29]
	v_add_f64 v[80:81], v[50:51], v[82:83]
	v_fma_f64 v[50:51], s[30:31], v[4:5], v[48:49]
	v_add_f64 v[98:99], v[98:99], v[106:107]
	v_add_f64 v[102:103], v[102:103], v[110:111]
	;; [unrolled: 1-line block ×3, first 2 shown]
	v_mul_f64 v[50:51], v[6:7], s[30:31]
	v_fma_f64 v[48:49], v[4:5], s[30:31], -v[48:49]
	v_mul_f64 v[10:11], v[10:11], s[10:11]
	v_add_f64 v[100:101], v[100:101], v[108:109]
	v_add_f64 v[104:105], v[104:105], v[112:113]
	;; [unrolled: 1-line block ×5, first 2 shown]
	v_fma_f64 v[84:85], s[34:35], v[8:9], v[50:51]
	v_add_f64 v[86:87], v[48:49], v[86:87]
	v_fmac_f64_e32 v[50:51], s[28:29], v[8:9]
	v_fma_f64 v[48:49], s[8:9], v[4:5], v[10:11]
	v_mul_f64 v[6:7], v[6:7], s[8:9]
	v_fma_f64 v[4:5], v[4:5], s[8:9], -v[10:11]
	v_add_f64 v[10:11], v[60:61], -v[64:65]
	v_add_f64 v[92:93], v[92:93], v[100:101]
	v_add_f64 v[96:97], v[96:97], v[104:105]
	;; [unrolled: 1-line block ×4, first 2 shown]
	v_fma_f64 v[48:49], s[2:3], v[8:9], v[6:7]
	v_add_f64 v[2:3], v[4:5], v[2:3]
	v_fmac_f64_e32 v[6:7], s[10:11], v[8:9]
	v_add_f64 v[4:5], v[58:59], v[62:63]
	v_add_f64 v[8:9], v[58:59], -v[62:63]
	v_mul_f64 v[58:59], v[10:11], s[28:29]
	v_add_f64 v[84:85], v[84:85], v[92:93]
	v_add_f64 v[92:93], v[48:49], v[96:97]
	;; [unrolled: 1-line block ×4, first 2 shown]
	v_fma_f64 v[48:49], s[30:31], v[4:5], v[58:59]
	v_add_f64 v[48:49], v[48:49], v[14:15]
	v_mul_f64 v[14:15], v[6:7], s[30:31]
	v_fma_f64 v[58:59], v[4:5], s[30:31], -v[58:59]
	v_fma_f64 v[50:51], s[34:35], v[8:9], v[14:15]
	v_add_f64 v[58:59], v[58:59], v[12:13]
	v_fmac_f64_e32 v[14:15], s[28:29], v[8:9]
	v_mul_f64 v[12:13], v[10:11], s[18:19]
	v_add_f64 v[60:61], v[14:15], v[16:17]
	v_fma_f64 v[14:15], s[16:17], v[4:5], v[12:13]
	v_add_f64 v[62:63], v[14:15], v[66:67]
	v_mul_f64 v[14:15], v[6:7], s[16:17]
	v_fma_f64 v[12:13], v[4:5], s[16:17], -v[12:13]
	v_fma_f64 v[16:17], s[14:15], v[8:9], v[14:15]
	v_add_f64 v[66:67], v[12:13], v[18:19]
	v_fmac_f64_e32 v[14:15], s[18:19], v[8:9]
	v_mul_f64 v[12:13], v[10:11], s[22:23]
	v_add_f64 v[64:65], v[16:17], v[68:69]
	v_add_f64 v[68:69], v[14:15], v[72:73]
	v_fma_f64 v[14:15], s[24:25], v[4:5], v[12:13]
	v_add_f64 v[50:51], v[50:51], v[70:71]
	v_add_f64 v[70:71], v[14:15], v[74:75]
	v_mul_f64 v[14:15], v[6:7], s[24:25]
	v_fma_f64 v[12:13], v[4:5], s[24:25], -v[12:13]
	v_fma_f64 v[16:17], s[26:27], v[8:9], v[14:15]
	v_add_f64 v[74:75], v[12:13], v[76:77]
	v_fmac_f64_e32 v[14:15], s[22:23], v[8:9]
	v_mul_f64 v[12:13], v[10:11], s[10:11]
	v_add_f64 v[76:77], v[14:15], v[80:81]
	v_fma_f64 v[14:15], s[8:9], v[4:5], v[12:13]
	v_fma_f64 v[12:13], v[4:5], s[8:9], -v[12:13]
	v_mul_f64 v[10:11], v[10:11], s[0:1]
	v_add_f64 v[72:73], v[16:17], v[78:79]
	v_add_f64 v[78:79], v[14:15], v[82:83]
	v_mul_f64 v[14:15], v[6:7], s[8:9]
	v_add_f64 v[82:83], v[12:13], v[86:87]
	v_fma_f64 v[12:13], s[12:13], v[4:5], v[10:11]
	v_mul_f64 v[6:7], v[6:7], s[12:13]
	v_fma_f64 v[16:17], s[2:3], v[8:9], v[14:15]
	v_fmac_f64_e32 v[14:15], s[10:11], v[8:9]
	v_add_f64 v[86:87], v[12:13], v[90:91]
	v_fma_f64 v[12:13], s[20:21], v[8:9], v[6:7]
	v_fma_f64 v[4:5], v[4:5], s[12:13], -v[10:11]
	v_fmac_f64_e32 v[6:7], s[0:1], v[8:9]
	v_add_f64 v[80:81], v[16:17], v[84:85]
	v_add_f64 v[84:85], v[14:15], v[88:89]
	;; [unrolled: 1-line block ×5, first 2 shown]
	ds_write_b128 v224, v[44:47]
	ds_write_b128 v224, v[48:51] offset:2640
	ds_write_b128 v224, v[62:65] offset:5280
	;; [unrolled: 1-line block ×10, first 2 shown]
	s_waitcnt lgkmcnt(0)
	s_barrier
	ds_read_b128 v[44:47], v224
	ds_read_b128 v[48:51], v224 offset:2640
	v_mov_b32_e32 v56, v55
	v_accvgpr_read_b32 v2, a8
	v_mad_u64_u32 v[0:1], s[0:1], s7, v228, v[56:57]
	v_accvgpr_read_b32 v4, a10
	v_accvgpr_read_b32 v5, a11
	v_mov_b32_e32 v55, v0
	v_accvgpr_read_b32 v3, a9
	s_waitcnt lgkmcnt(1)
	v_mul_f64 v[0:1], v[4:5], v[46:47]
	s_mov_b32 s0, 0x953a4099
	v_fmac_f64_e32 v[0:1], v[2:3], v[44:45]
	s_mov_b32 s1, 0x3f420dd2
	v_mul_f64 v[56:57], v[0:1], s[0:1]
	v_mul_f64 v[0:1], v[4:5], v[44:45]
	v_fma_f64 v[0:1], v[2:3], v[46:47], -v[0:1]
	v_mul_f64 v[58:59], v[0:1], s[0:1]
	v_mad_u64_u32 v[0:1], s[2:3], s4, v226, 0
	v_mov_b32_e32 v2, v1
	v_mad_u64_u32 v[2:3], s[2:3], s5, v226, v[2:3]
	v_accvgpr_read_b32 v7, a3
	v_mov_b32_e32 v1, v2
	v_lshl_add_u64 v[2:3], v[54:55], 4, v[52:53]
	v_accvgpr_read_b32 v6, a2
	v_lshl_add_u64 v[0:1], v[0:1], 4, v[2:3]
	v_accvgpr_read_b32 v5, a1
	v_accvgpr_read_b32 v4, a0
	s_waitcnt lgkmcnt(0)
	v_mul_f64 v[2:3], v[6:7], v[50:51]
	v_fmac_f64_e32 v[2:3], v[4:5], v[48:49]
	v_mul_f64 v[8:9], v[2:3], s[0:1]
	v_mul_f64 v[2:3], v[6:7], v[48:49]
	v_fma_f64 v[2:3], v[4:5], v[50:51], -v[2:3]
	v_mov_b32_e32 v14, 0xa50
	global_store_dwordx4 v[0:1], v[56:59], off
	v_mul_f64 v[10:11], v[2:3], s[0:1]
	v_mad_u64_u32 v[4:5], s[2:3], s4, v14, v[0:1]
	ds_read_b128 v[0:3], v224 offset:5280
	s_mul_i32 s2, s5, 0xa50
	v_add_u32_e32 v5, s2, v5
	v_accvgpr_read_b32 v19, a15
	global_store_dwordx4 v[4:5], v[8:11], off
	ds_read_b128 v[8:11], v224 offset:7920
	v_accvgpr_read_b32 v18, a14
	v_accvgpr_read_b32 v17, a13
	;; [unrolled: 1-line block ×3, first 2 shown]
	s_waitcnt lgkmcnt(1)
	v_mul_f64 v[6:7], v[18:19], v[2:3]
	v_fmac_f64_e32 v[6:7], v[16:17], v[0:1]
	v_mul_f64 v[44:45], v[6:7], s[0:1]
	v_mul_f64 v[0:1], v[18:19], v[0:1]
	v_mad_u64_u32 v[12:13], s[6:7], s4, v14, v[4:5]
	v_accvgpr_read_b32 v4, a4
	v_fma_f64 v[0:1], v[16:17], v[2:3], -v[0:1]
	v_accvgpr_read_b32 v6, a6
	v_accvgpr_read_b32 v7, a7
	v_mul_f64 v[46:47], v[0:1], s[0:1]
	v_accvgpr_read_b32 v5, a5
	s_waitcnt lgkmcnt(0)
	v_mul_f64 v[0:1], v[6:7], v[10:11]
	v_mul_f64 v[2:3], v[6:7], v[8:9]
	v_fmac_f64_e32 v[0:1], v[4:5], v[8:9]
	v_fma_f64 v[2:3], v[4:5], v[10:11], -v[2:3]
	ds_read_b128 v[4:7], v224 offset:10560
	v_add_u32_e32 v13, s2, v13
	global_store_dwordx4 v[12:13], v[44:47], off
	v_mad_u64_u32 v[12:13], s[6:7], s4, v14, v[12:13]
	v_mul_f64 v[0:1], v[0:1], s[0:1]
	v_mul_f64 v[2:3], v[2:3], s[0:1]
	v_add_u32_e32 v13, s2, v13
	global_store_dwordx4 v[12:13], v[0:3], off
	ds_read_b128 v[0:3], v224 offset:13200
	s_waitcnt lgkmcnt(1)
	v_mul_f64 v[8:9], v[30:31], v[6:7]
	v_fmac_f64_e32 v[8:9], v[28:29], v[4:5]
	v_mul_f64 v[4:5], v[30:31], v[4:5]
	v_fma_f64 v[4:5], v[28:29], v[6:7], -v[4:5]
	v_mad_u64_u32 v[12:13], s[6:7], s4, v14, v[12:13]
	v_mul_f64 v[8:9], v[8:9], s[0:1]
	v_mul_f64 v[10:11], v[4:5], s[0:1]
	v_add_u32_e32 v13, s2, v13
	global_store_dwordx4 v[12:13], v[8:11], off
	v_accvgpr_read_b32 v6, a16
	v_accvgpr_read_b32 v7, a17
	;; [unrolled: 1-line block ×4, first 2 shown]
	s_waitcnt lgkmcnt(0)
	v_mul_f64 v[4:5], v[8:9], v[2:3]
	v_fmac_f64_e32 v[4:5], v[6:7], v[0:1]
	v_mul_f64 v[0:1], v[8:9], v[0:1]
	v_fma_f64 v[0:1], v[6:7], v[2:3], -v[0:1]
	v_mul_f64 v[6:7], v[0:1], s[0:1]
	ds_read_b128 v[0:3], v224 offset:15840
	v_mad_u64_u32 v[12:13], s[6:7], s4, v14, v[12:13]
	v_mul_f64 v[4:5], v[4:5], s[0:1]
	v_add_u32_e32 v13, s2, v13
	global_store_dwordx4 v[12:13], v[4:7], off
	ds_read_b128 v[4:7], v224 offset:18480
	s_waitcnt lgkmcnt(1)
	v_mul_f64 v[8:9], v[38:39], v[2:3]
	v_fmac_f64_e32 v[8:9], v[36:37], v[0:1]
	v_mul_f64 v[0:1], v[38:39], v[0:1]
	v_fma_f64 v[0:1], v[36:37], v[2:3], -v[0:1]
	v_mul_f64 v[10:11], v[0:1], s[0:1]
	v_mad_u64_u32 v[12:13], s[6:7], s4, v14, v[12:13]
	s_waitcnt lgkmcnt(0)
	v_mul_f64 v[0:1], v[22:23], v[6:7]
	v_mul_f64 v[2:3], v[22:23], v[4:5]
	;; [unrolled: 1-line block ×3, first 2 shown]
	v_add_u32_e32 v13, s2, v13
	v_fmac_f64_e32 v[0:1], v[20:21], v[4:5]
	v_fma_f64 v[2:3], v[20:21], v[6:7], -v[2:3]
	ds_read_b128 v[4:7], v224 offset:21120
	global_store_dwordx4 v[12:13], v[8:11], off
	v_mad_u64_u32 v[12:13], s[6:7], s4, v14, v[12:13]
	v_mul_f64 v[0:1], v[0:1], s[0:1]
	v_mul_f64 v[2:3], v[2:3], s[0:1]
	v_add_u32_e32 v13, s2, v13
	global_store_dwordx4 v[12:13], v[0:3], off
	ds_read_b128 v[0:3], v224 offset:23760
	s_waitcnt lgkmcnt(1)
	v_mul_f64 v[8:9], v[42:43], v[6:7]
	v_fmac_f64_e32 v[8:9], v[40:41], v[4:5]
	v_mul_f64 v[4:5], v[42:43], v[4:5]
	v_fma_f64 v[4:5], v[40:41], v[6:7], -v[4:5]
	v_mul_f64 v[10:11], v[4:5], s[0:1]
	s_waitcnt lgkmcnt(0)
	v_mul_f64 v[4:5], v[26:27], v[2:3]
	v_fmac_f64_e32 v[4:5], v[24:25], v[0:1]
	v_mul_f64 v[0:1], v[26:27], v[0:1]
	v_fma_f64 v[0:1], v[24:25], v[2:3], -v[0:1]
	v_mul_f64 v[6:7], v[0:1], s[0:1]
	ds_read_b128 v[0:3], v224 offset:26400
	v_mad_u64_u32 v[12:13], s[6:7], s4, v14, v[12:13]
	v_mul_f64 v[8:9], v[8:9], s[0:1]
	v_add_u32_e32 v13, s2, v13
	global_store_dwordx4 v[12:13], v[8:11], off
	v_mul_f64 v[4:5], v[4:5], s[0:1]
	s_nop 0
	v_mad_u64_u32 v[8:9], s[6:7], s4, v14, v[12:13]
	v_add_u32_e32 v9, s2, v9
	global_store_dwordx4 v[8:9], v[4:7], off
	s_waitcnt lgkmcnt(0)
	s_nop 0
	v_mul_f64 v[4:5], v[34:35], v[2:3]
	v_fmac_f64_e32 v[4:5], v[32:33], v[0:1]
	v_mul_f64 v[0:1], v[34:35], v[0:1]
	v_fma_f64 v[0:1], v[32:33], v[2:3], -v[0:1]
	v_mul_f64 v[4:5], v[4:5], s[0:1]
	v_mul_f64 v[6:7], v[0:1], s[0:1]
	v_mad_u64_u32 v[0:1], s[0:1], s4, v14, v[8:9]
	v_add_u32_e32 v1, s2, v1
	global_store_dwordx4 v[0:1], v[4:7], off
.LBB0_18:
	s_endpgm
	.section	.rodata,"a",@progbits
	.p2align	6, 0x0
	.amdhsa_kernel bluestein_single_fwd_len1815_dim1_dp_op_CI_CI
		.amdhsa_group_segment_fixed_size 29040
		.amdhsa_private_segment_fixed_size 0
		.amdhsa_kernarg_size 104
		.amdhsa_user_sgpr_count 2
		.amdhsa_user_sgpr_dispatch_ptr 0
		.amdhsa_user_sgpr_queue_ptr 0
		.amdhsa_user_sgpr_kernarg_segment_ptr 1
		.amdhsa_user_sgpr_dispatch_id 0
		.amdhsa_user_sgpr_kernarg_preload_length 0
		.amdhsa_user_sgpr_kernarg_preload_offset 0
		.amdhsa_user_sgpr_private_segment_size 0
		.amdhsa_uses_dynamic_stack 0
		.amdhsa_enable_private_segment 0
		.amdhsa_system_sgpr_workgroup_id_x 1
		.amdhsa_system_sgpr_workgroup_id_y 0
		.amdhsa_system_sgpr_workgroup_id_z 0
		.amdhsa_system_sgpr_workgroup_info 0
		.amdhsa_system_vgpr_workitem_id 0
		.amdhsa_next_free_vgpr 280
		.amdhsa_next_free_sgpr 40
		.amdhsa_accum_offset 256
		.amdhsa_reserve_vcc 1
		.amdhsa_float_round_mode_32 0
		.amdhsa_float_round_mode_16_64 0
		.amdhsa_float_denorm_mode_32 3
		.amdhsa_float_denorm_mode_16_64 3
		.amdhsa_dx10_clamp 1
		.amdhsa_ieee_mode 1
		.amdhsa_fp16_overflow 0
		.amdhsa_tg_split 0
		.amdhsa_exception_fp_ieee_invalid_op 0
		.amdhsa_exception_fp_denorm_src 0
		.amdhsa_exception_fp_ieee_div_zero 0
		.amdhsa_exception_fp_ieee_overflow 0
		.amdhsa_exception_fp_ieee_underflow 0
		.amdhsa_exception_fp_ieee_inexact 0
		.amdhsa_exception_int_div_zero 0
	.end_amdhsa_kernel
	.text
.Lfunc_end0:
	.size	bluestein_single_fwd_len1815_dim1_dp_op_CI_CI, .Lfunc_end0-bluestein_single_fwd_len1815_dim1_dp_op_CI_CI
                                        ; -- End function
	.section	.AMDGPU.csdata,"",@progbits
; Kernel info:
; codeLenInByte = 20200
; NumSgprs: 46
; NumVgprs: 256
; NumAgprs: 24
; TotalNumVgprs: 280
; ScratchSize: 0
; MemoryBound: 0
; FloatMode: 240
; IeeeMode: 1
; LDSByteSize: 29040 bytes/workgroup (compile time only)
; SGPRBlocks: 5
; VGPRBlocks: 34
; NumSGPRsForWavesPerEU: 46
; NumVGPRsForWavesPerEU: 280
; AccumOffset: 256
; Occupancy: 1
; WaveLimiterHint : 1
; COMPUTE_PGM_RSRC2:SCRATCH_EN: 0
; COMPUTE_PGM_RSRC2:USER_SGPR: 2
; COMPUTE_PGM_RSRC2:TRAP_HANDLER: 0
; COMPUTE_PGM_RSRC2:TGID_X_EN: 1
; COMPUTE_PGM_RSRC2:TGID_Y_EN: 0
; COMPUTE_PGM_RSRC2:TGID_Z_EN: 0
; COMPUTE_PGM_RSRC2:TIDIG_COMP_CNT: 0
; COMPUTE_PGM_RSRC3_GFX90A:ACCUM_OFFSET: 63
; COMPUTE_PGM_RSRC3_GFX90A:TG_SPLIT: 0
	.text
	.p2alignl 6, 3212836864
	.fill 256, 4, 3212836864
	.type	__hip_cuid_c84d060f3a1219c4,@object ; @__hip_cuid_c84d060f3a1219c4
	.section	.bss,"aw",@nobits
	.globl	__hip_cuid_c84d060f3a1219c4
__hip_cuid_c84d060f3a1219c4:
	.byte	0                               ; 0x0
	.size	__hip_cuid_c84d060f3a1219c4, 1

	.ident	"AMD clang version 19.0.0git (https://github.com/RadeonOpenCompute/llvm-project roc-6.4.0 25133 c7fe45cf4b819c5991fe208aaa96edf142730f1d)"
	.section	".note.GNU-stack","",@progbits
	.addrsig
	.addrsig_sym __hip_cuid_c84d060f3a1219c4
	.amdgpu_metadata
---
amdhsa.kernels:
  - .agpr_count:     24
    .args:
      - .actual_access:  read_only
        .address_space:  global
        .offset:         0
        .size:           8
        .value_kind:     global_buffer
      - .actual_access:  read_only
        .address_space:  global
        .offset:         8
        .size:           8
        .value_kind:     global_buffer
      - .actual_access:  read_only
        .address_space:  global
        .offset:         16
        .size:           8
        .value_kind:     global_buffer
      - .actual_access:  read_only
        .address_space:  global
        .offset:         24
        .size:           8
        .value_kind:     global_buffer
      - .actual_access:  read_only
        .address_space:  global
        .offset:         32
        .size:           8
        .value_kind:     global_buffer
      - .offset:         40
        .size:           8
        .value_kind:     by_value
      - .address_space:  global
        .offset:         48
        .size:           8
        .value_kind:     global_buffer
      - .address_space:  global
        .offset:         56
        .size:           8
        .value_kind:     global_buffer
      - .address_space:  global
        .offset:         64
        .size:           8
        .value_kind:     global_buffer
      - .address_space:  global
        .offset:         72
        .size:           8
        .value_kind:     global_buffer
      - .offset:         80
        .size:           4
        .value_kind:     by_value
      - .address_space:  global
        .offset:         88
        .size:           8
        .value_kind:     global_buffer
      - .address_space:  global
        .offset:         96
        .size:           8
        .value_kind:     global_buffer
    .group_segment_fixed_size: 29040
    .kernarg_segment_align: 8
    .kernarg_segment_size: 104
    .language:       OpenCL C
    .language_version:
      - 2
      - 0
    .max_flat_workgroup_size: 165
    .name:           bluestein_single_fwd_len1815_dim1_dp_op_CI_CI
    .private_segment_fixed_size: 0
    .sgpr_count:     46
    .sgpr_spill_count: 0
    .symbol:         bluestein_single_fwd_len1815_dim1_dp_op_CI_CI.kd
    .uniform_work_group_size: 1
    .uses_dynamic_stack: false
    .vgpr_count:     280
    .vgpr_spill_count: 0
    .wavefront_size: 64
amdhsa.target:   amdgcn-amd-amdhsa--gfx950
amdhsa.version:
  - 1
  - 2
...

	.end_amdgpu_metadata
